;; amdgpu-corpus repo=ROCm/rocFFT kind=compiled arch=gfx1030 opt=O3
	.text
	.amdgcn_target "amdgcn-amd-amdhsa--gfx1030"
	.amdhsa_code_object_version 6
	.protected	bluestein_single_back_len1750_dim1_dp_op_CI_CI ; -- Begin function bluestein_single_back_len1750_dim1_dp_op_CI_CI
	.globl	bluestein_single_back_len1750_dim1_dp_op_CI_CI
	.p2align	8
	.type	bluestein_single_back_len1750_dim1_dp_op_CI_CI,@function
bluestein_single_back_len1750_dim1_dp_op_CI_CI: ; @bluestein_single_back_len1750_dim1_dp_op_CI_CI
; %bb.0:
	s_load_dwordx4 s[8:11], s[4:5], 0x28
	v_mul_u32_u24_e32 v1, 0x177, v0
	s_mov_b64 s[38:39], s[2:3]
	s_mov_b64 s[36:37], s[0:1]
	v_mov_b32_e32 v3, 0
	s_add_u32 s36, s36, s7
	v_lshrrev_b32_e32 v1, 16, v1
	s_addc_u32 s37, s37, 0
	s_mov_b32 s0, exec_lo
	v_add_nc_u32_e32 v2, s6, v1
	s_waitcnt lgkmcnt(0)
	v_cmpx_gt_u64_e64 s[8:9], v[2:3]
	s_cbranch_execz .LBB0_10
; %bb.1:
	s_clause 0x1
	s_load_dwordx4 s[0:3], s[4:5], 0x18
	s_load_dwordx4 s[12:15], s[4:5], 0x0
	v_mul_lo_u16 v1, 0xaf, v1
	v_mov_b32_e32 v3, v2
	v_sub_nc_u16 v84, v0, v1
	v_and_b32_e32 v234, 0xffff, v84
	v_lshlrev_b32_e32 v233, 4, v234
	v_add_co_u32 v244, null, 0xaf, v234
	s_waitcnt lgkmcnt(0)
	s_load_dwordx4 s[16:19], s[0:1], 0x0
	v_lshlrev_b32_e32 v245, 5, v234
	v_add_co_u32 v0, s0, s12, v233
	global_load_dwordx4 v[121:124], v233, s[12:13]
	v_add_co_ci_u32_e64 v1, null, s13, 0, s0
	v_add_co_u32 v4, vcc_lo, 0x3000, v0
	buffer_store_dword v3, off, s[36:39], 0 ; 4-byte Folded Spill
	buffer_store_dword v4, off, s[36:39], 0 offset:4 ; 4-byte Folded Spill
	v_add_co_ci_u32_e32 v5, vcc_lo, 0, v1, vcc_lo
	v_add_co_u32 v6, vcc_lo, 0x800, v0
	v_add_co_ci_u32_e32 v7, vcc_lo, 0, v1, vcc_lo
	v_add_co_u32 v8, vcc_lo, 0x4000, v0
	s_waitcnt lgkmcnt(0)
	v_mad_u64_u32 v[10:11], null, s18, v2, 0
	v_add_co_ci_u32_e32 v9, vcc_lo, 0, v1, vcc_lo
	v_add_co_u32 v12, vcc_lo, 0x1000, v0
	v_mad_u64_u32 v[14:15], null, s16, v234, 0
	v_add_co_ci_u32_e32 v13, vcc_lo, 0, v1, vcc_lo
	v_mad_u64_u32 v[32:33], null, s19, v2, v[11:12]
	v_add_co_u32 v28, vcc_lo, 0x4800, v0
	v_mad_u64_u32 v[15:16], null, s17, v234, v[15:16]
	v_add_co_ci_u32_e32 v29, vcc_lo, 0, v1, vcc_lo
	v_mov_b32_e32 v11, v32
	v_add_co_u32 v30, vcc_lo, 0x2000, v0
	v_add_co_ci_u32_e32 v31, vcc_lo, 0, v1, vcc_lo
	v_add_co_u32 v33, vcc_lo, 0x5000, v0
	v_add_co_ci_u32_e32 v34, vcc_lo, 0, v1, vcc_lo
	s_mul_i32 s0, s17, 0x36b0
	s_mul_hi_u32 s1, s16, 0x36b0
	s_mul_i32 s6, s16, 0x36b0
	s_add_i32 s1, s1, s0
	s_mul_hi_u32 s8, s16, 0xffffd440
	s_mul_i32 s7, s17, 0xffffd440
	s_mul_i32 s9, s16, 0xffffd440
	s_sub_i32 s0, s8, s16
	s_mov_b32 s17, 0xbfe2cf23
	s_add_i32 s0, s0, s7
	s_mov_b32 s7, 0xbfee6f0e
	s_mov_b32 s18, 0x372fe950
	;; [unrolled: 1-line block ×3, first 2 shown]
	s_clause 0x2
	global_load_dwordx4 v[24:27], v[4:5], off offset:1712
	global_load_dwordx4 v[20:23], v[6:7], off offset:752
	;; [unrolled: 1-line block ×3, first 2 shown]
	v_lshlrev_b64 v[4:5], 4, v[10:11]
	v_lshlrev_b64 v[6:7], 4, v[14:15]
	global_load_dwordx4 v[10:13], v[12:13], off offset:1504
	v_add_co_u32 v2, vcc_lo, s10, v4
	v_add_co_ci_u32_e32 v3, vcc_lo, s11, v5, vcc_lo
	v_add_co_u32 v35, vcc_lo, v2, v6
	v_add_co_ci_u32_e32 v36, vcc_lo, v3, v7, vcc_lo
	global_load_dwordx4 v[6:9], v[28:29], off offset:1168
	v_add_co_u32 v37, vcc_lo, v35, s6
	v_add_co_ci_u32_e32 v38, vcc_lo, s1, v36, vcc_lo
	global_load_dwordx4 v[2:5], v[30:31], off offset:208
	v_add_co_u32 v48, vcc_lo, v37, s9
	v_add_co_ci_u32_e32 v49, vcc_lo, s0, v38, vcc_lo
	s_clause 0x1
	global_load_dwordx4 v[40:43], v[35:36], off
	global_load_dwordx4 v[44:47], v[37:38], off
	v_add_co_u32 v52, vcc_lo, v48, s6
	v_add_co_ci_u32_e32 v53, vcc_lo, s1, v49, vcc_lo
	global_load_dwordx4 v[48:51], v[48:49], off
	v_add_co_u32 v28, vcc_lo, v52, s9
	v_add_co_ci_u32_e32 v29, vcc_lo, s0, v53, vcc_lo
	v_add_co_u32 v30, vcc_lo, v28, s6
	v_add_co_ci_u32_e32 v31, vcc_lo, s1, v29, vcc_lo
	;; [unrolled: 2-line block ×4, first 2 shown]
	s_clause 0x1
	global_load_dwordx4 v[52:55], v[52:53], off
	global_load_dwordx4 v[56:59], v[28:29], off
	;; [unrolled: 1-line block ×5, first 2 shown]
	v_add_co_u32 v35, vcc_lo, v37, s9
	v_add_co_ci_u32_e32 v36, vcc_lo, s0, v38, vcc_lo
	v_add_co_u32 v37, vcc_lo, 0x2800, v0
	v_add_co_ci_u32_e32 v38, vcc_lo, 0, v1, vcc_lo
	;; [unrolled: 2-line block ×4, first 2 shown]
	global_load_dwordx4 v[28:31], v[33:34], off offset:1920
	global_load_dwordx4 v[72:75], v[35:36], off
	s_clause 0x1
	global_load_dwordx4 v[32:35], v[37:38], off offset:960
	global_load_dwordx4 v[36:39], v[76:77], off offset:624
	global_load_dwordx4 v[76:79], v[78:79], off
	v_lshlrev_b16 v0, 1, v84
	v_lshlrev_b32_e32 v1, 5, v244
	s_mov_b32 s0, 0x134454ff
	s_mov_b32 s1, 0x3fee6f0e
	;; [unrolled: 1-line block ×3, first 2 shown]
	v_cmp_gt_u16_e32 vcc_lo, 0x4b, v84
	s_waitcnt vmcnt(12)
	v_mul_f64 v[80:81], v[42:43], v[123:124]
	v_mul_f64 v[82:83], v[40:41], v[123:124]
	s_waitcnt vmcnt(11)
	v_mul_f64 v[85:86], v[46:47], v[26:27]
	v_mul_f64 v[87:88], v[44:45], v[26:27]
	;; [unrolled: 3-line block ×3, first 2 shown]
	v_fma_f64 v[40:41], v[40:41], v[121:122], v[80:81]
	s_waitcnt vmcnt(8)
	v_mul_f64 v[97:98], v[58:59], v[12:13]
	s_waitcnt vmcnt(7)
	v_mul_f64 v[101:102], v[62:63], v[8:9]
	;; [unrolled: 2-line block ×3, first 2 shown]
	buffer_store_dword v121, off, s[36:39], 0 offset:8 ; 4-byte Folded Spill
	buffer_store_dword v122, off, s[36:39], 0 offset:12 ; 4-byte Folded Spill
	;; [unrolled: 1-line block ×4, first 2 shown]
	v_mul_f64 v[99:100], v[56:57], v[12:13]
	v_mul_f64 v[103:104], v[60:61], v[8:9]
	;; [unrolled: 1-line block ×5, first 2 shown]
	v_fma_f64 v[44:45], v[44:45], v[24:25], v[85:86]
	v_fma_f64 v[46:47], v[46:47], v[24:25], -v[87:88]
	v_fma_f64 v[48:49], v[48:49], v[20:21], v[89:90]
	v_fma_f64 v[50:51], v[50:51], v[20:21], -v[91:92]
	s_waitcnt vmcnt(4)
	v_mul_f64 v[109:110], v[70:71], v[30:31]
	v_mul_f64 v[111:112], v[68:69], v[30:31]
	s_waitcnt vmcnt(2)
	v_mul_f64 v[113:114], v[74:75], v[34:35]
	v_mul_f64 v[115:116], v[72:73], v[34:35]
	;; [unrolled: 3-line block ×3, first 2 shown]
	v_fma_f64 v[56:57], v[56:57], v[10:11], v[97:98]
	buffer_store_dword v10, off, s[36:39], 0 offset:56 ; 4-byte Folded Spill
	buffer_store_dword v11, off, s[36:39], 0 offset:60 ; 4-byte Folded Spill
	buffer_store_dword v12, off, s[36:39], 0 offset:64 ; 4-byte Folded Spill
	buffer_store_dword v13, off, s[36:39], 0 offset:68 ; 4-byte Folded Spill
	v_fma_f64 v[60:61], v[60:61], v[6:7], v[101:102]
	buffer_store_dword v6, off, s[36:39], 0 offset:40 ; 4-byte Folded Spill
	buffer_store_dword v7, off, s[36:39], 0 offset:44 ; 4-byte Folded Spill
	buffer_store_dword v8, off, s[36:39], 0 offset:48 ; 4-byte Folded Spill
	buffer_store_dword v9, off, s[36:39], 0 offset:52 ; 4-byte Folded Spill
	;; [unrolled: 5-line block ×3, first 2 shown]
	s_load_dwordx4 s[8:11], s[2:3], 0x0
	v_fma_f64 v[52:53], v[52:53], v[16:17], v[93:94]
	v_fma_f64 v[54:55], v[54:55], v[16:17], -v[95:96]
	s_mov_b32 s2, 0x4755a5e
	s_mov_b32 s3, 0x3fe2cf23
	;; [unrolled: 1-line block ×3, first 2 shown]
	v_fma_f64 v[68:69], v[68:69], v[28:29], v[109:110]
	v_fma_f64 v[70:71], v[70:71], v[28:29], -v[111:112]
	v_fma_f64 v[72:73], v[72:73], v[32:33], v[113:114]
	v_fma_f64 v[74:75], v[74:75], v[32:33], -v[115:116]
	v_fma_f64 v[76:77], v[76:77], v[36:37], v[117:118]
	v_fma_f64 v[78:79], v[78:79], v[36:37], -v[119:120]
	v_fma_f64 v[42:43], v[42:43], v[121:122], -v[82:83]
	v_fma_f64 v[58:59], v[58:59], v[10:11], -v[99:100]
	v_fma_f64 v[62:63], v[62:63], v[6:7], -v[103:104]
	v_fma_f64 v[66:67], v[66:67], v[2:3], -v[107:108]
	ds_write_b128 v233, v[40:43]
	ds_write_b128 v233, v[44:47] offset:14000
	ds_write_b128 v233, v[48:51] offset:2800
	;; [unrolled: 1-line block ×9, first 2 shown]
	s_waitcnt lgkmcnt(0)
	s_waitcnt_vscnt null, 0x0
	s_barrier
	buffer_gl0_inv
	ds_read_b128 v[40:43], v233 offset:14000
	ds_read_b128 v[44:47], v233
	ds_read_b128 v[48:51], v233 offset:2800
	ds_read_b128 v[52:55], v233 offset:16800
	ds_read_b128 v[56:59], v233 offset:19600
	ds_read_b128 v[60:63], v233 offset:5600
	ds_read_b128 v[64:67], v233 offset:8400
	ds_read_b128 v[68:71], v233 offset:22400
	ds_read_b128 v[73:76], v233 offset:11200
	ds_read_b128 v[77:80], v233 offset:25200
	v_mov_b32_e32 v72, 4
	s_waitcnt lgkmcnt(0)
	s_barrier
	buffer_gl0_inv
	v_lshlrev_b32_sdwa v2, v72, v0 dst_sel:DWORD dst_unused:UNUSED_PAD src0_sel:DWORD src1_sel:WORD_0
	v_add_f64 v[40:41], v[44:45], -v[40:41]
	v_add_f64 v[42:43], v[46:47], -v[42:43]
	;; [unrolled: 1-line block ×10, first 2 shown]
	ds_write_b128 v2, v[40:43] offset:16
	ds_write_b128 v1, v[52:55] offset:16
	;; [unrolled: 1-line block ×5, first 2 shown]
	v_fma_f64 v[44:45], v[44:45], 2.0, -v[40:41]
	v_fma_f64 v[46:47], v[46:47], 2.0, -v[42:43]
	;; [unrolled: 1-line block ×10, first 2 shown]
	v_and_b32_e32 v73, 1, v234
	v_and_b32_e32 v74, 1, v244
	buffer_store_dword v2, off, s[36:39], 0 offset:84 ; 4-byte Folded Spill
	buffer_store_dword v1, off, s[36:39], 0 offset:80 ; 4-byte Folded Spill
	v_lshlrev_b32_e32 v0, 6, v73
	ds_write_b128 v2, v[44:47]
	ds_write_b128 v1, v[48:51]
	ds_write_b128 v245, v[60:63] offset:11200
	ds_write_b128 v245, v[64:67] offset:16800
	;; [unrolled: 1-line block ×3, first 2 shown]
	s_waitcnt lgkmcnt(0)
	s_waitcnt_vscnt null, 0x0
	s_barrier
	buffer_gl0_inv
	s_clause 0x1
	global_load_dwordx4 v[68:71], v0, s[14:15]
	global_load_dwordx4 v[64:67], v0, s[14:15] offset:16
	v_lshlrev_b32_e32 v1, 6, v74
	s_clause 0x5
	global_load_dwordx4 v[52:55], v0, s[14:15] offset:32
	global_load_dwordx4 v[40:43], v0, s[14:15] offset:48
	global_load_dwordx4 v[60:63], v1, s[14:15]
	global_load_dwordx4 v[56:59], v1, s[14:15] offset:16
	global_load_dwordx4 v[48:51], v1, s[14:15] offset:32
	;; [unrolled: 1-line block ×3, first 2 shown]
	ds_read_b128 v[75:78], v233 offset:5600
	ds_read_b128 v[79:82], v233 offset:11200
	;; [unrolled: 1-line block ×8, first 2 shown]
	v_and_b32_e32 v0, 0xff, v84
	v_mov_b32_e32 v1, 0xcccd
	v_lshrrev_b32_e32 v2, 1, v234
	v_mul_lo_u16 v0, 0xcd, v0
	v_mul_u32_u24_sdwa v1, v244, v1 dst_sel:DWORD dst_unused:UNUSED_PAD src0_sel:WORD_0 src1_sel:DWORD
	v_mul_u32_u24_e32 v2, 10, v2
	v_or_b32_e32 v2, v2, v73
	v_lshlrev_b32_e32 v242, 4, v2
	s_waitcnt vmcnt(5) lgkmcnt(5)
	v_mul_f64 v[117:118], v[87:88], v[54:55]
	v_mul_f64 v[113:114], v[81:82], v[66:67]
	;; [unrolled: 1-line block ×6, first 2 shown]
	s_waitcnt vmcnt(4) lgkmcnt(4)
	v_mul_f64 v[121:122], v[91:92], v[42:43]
	v_mul_f64 v[123:124], v[89:90], v[42:43]
	s_waitcnt vmcnt(3) lgkmcnt(3)
	v_mul_f64 v[125:126], v[95:96], v[62:63]
	v_mul_f64 v[127:128], v[93:94], v[62:63]
	;; [unrolled: 3-line block ×3, first 2 shown]
	s_waitcnt vmcnt(1) lgkmcnt(1)
	v_mul_f64 v[133:134], v[103:104], v[50:51]
	s_waitcnt vmcnt(0) lgkmcnt(0)
	v_mul_f64 v[135:136], v[107:108], v[46:47]
	v_mul_f64 v[137:138], v[101:102], v[50:51]
	;; [unrolled: 1-line block ×3, first 2 shown]
	v_fma_f64 v[117:118], v[85:86], v[52:53], -v[117:118]
	v_fma_f64 v[113:114], v[79:80], v[64:65], -v[113:114]
	v_fma_f64 v[115:116], v[81:82], v[64:65], v[115:116]
	v_fma_f64 v[86:87], v[87:88], v[52:53], v[119:120]
	v_fma_f64 v[109:110], v[75:76], v[68:69], -v[109:110]
	v_fma_f64 v[111:112], v[77:78], v[68:69], v[111:112]
	v_fma_f64 v[88:89], v[89:90], v[40:41], -v[121:122]
	;; [unrolled: 2-line block ×5, first 2 shown]
	v_fma_f64 v[105:106], v[105:106], v[44:45], -v[135:136]
	v_fma_f64 v[102:103], v[103:104], v[48:49], v[137:138]
	v_fma_f64 v[107:108], v[107:108], v[44:45], v[139:140]
	ds_read_b128 v[76:79], v233
	ds_read_b128 v[80:83], v233 offset:2800
	v_lshrrev_b16 v85, 11, v0
	v_lshrrev_b32_e32 v75, 19, v1
	v_lshrrev_b32_e32 v0, 1, v244
	s_waitcnt lgkmcnt(0)
	s_barrier
	v_add_f64 v[119:120], v[113:114], v[117:118]
	v_add_f64 v[177:178], v[113:114], -v[117:118]
	v_add_f64 v[123:124], v[115:116], v[86:87]
	v_add_f64 v[137:138], v[109:110], -v[113:114]
	v_add_f64 v[141:142], v[113:114], -v[109:110]
	v_add_f64 v[121:122], v[109:110], v[88:89]
	v_add_f64 v[125:126], v[111:112], v[90:91]
	v_add_f64 v[139:140], v[88:89], -v[117:118]
	v_add_f64 v[147:148], v[111:112], -v[115:116]
	;; [unrolled: 1-line block ×4, first 2 shown]
	v_add_f64 v[127:128], v[96:97], v[100:101]
	v_add_f64 v[129:130], v[92:93], v[105:106]
	v_add_f64 v[131:132], v[98:99], v[102:103]
	v_add_f64 v[133:134], v[94:95], v[107:108]
	v_add_f64 v[135:136], v[76:77], v[109:110]
	v_add_f64 v[145:146], v[78:79], v[111:112]
	v_add_f64 v[153:154], v[80:81], v[92:93]
	v_add_f64 v[111:112], v[111:112], -v[90:91]
	v_add_f64 v[109:110], v[109:110], -v[88:89]
	v_add_f64 v[155:156], v[82:83], v[94:95]
	v_add_f64 v[175:176], v[115:116], -v[86:87]
	v_fma_f64 v[119:120], v[119:120], -0.5, v[76:77]
	v_add_f64 v[157:158], v[86:87], -v[90:91]
	v_fma_f64 v[123:124], v[123:124], -0.5, v[78:79]
	v_add_f64 v[159:160], v[92:93], -v[96:97]
	v_add_f64 v[163:164], v[96:97], -v[92:93]
	v_fma_f64 v[76:77], v[121:122], -0.5, v[76:77]
	v_fma_f64 v[78:79], v[125:126], -0.5, v[78:79]
	v_add_f64 v[167:168], v[94:95], -v[98:99]
	v_add_f64 v[171:172], v[98:99], -v[94:95]
	;; [unrolled: 1-line block ×4, first 2 shown]
	v_fma_f64 v[127:128], v[127:128], -0.5, v[80:81]
	v_fma_f64 v[80:81], v[129:130], -0.5, v[80:81]
	v_fma_f64 v[129:130], v[131:132], -0.5, v[82:83]
	v_add_f64 v[121:122], v[98:99], -v[102:103]
	v_add_f64 v[125:126], v[96:97], -v[100:101]
	v_fma_f64 v[82:83], v[133:134], -0.5, v[82:83]
	v_add_f64 v[113:114], v[135:136], v[113:114]
	v_add_f64 v[115:116], v[145:146], v[115:116]
	;; [unrolled: 1-line block ×5, first 2 shown]
	v_fma_f64 v[135:136], v[111:112], s[0:1], v[119:120]
	v_add_f64 v[143:144], v[117:118], -v[88:89]
	v_fma_f64 v[147:148], v[109:110], s[6:7], v[123:124]
	v_add_f64 v[98:99], v[155:156], v[98:99]
	v_fma_f64 v[119:120], v[111:112], s[6:7], v[119:120]
	v_fma_f64 v[145:146], v[175:176], s[6:7], v[76:77]
	;; [unrolled: 1-line block ×6, first 2 shown]
	v_add_f64 v[161:162], v[105:106], -v[100:101]
	v_add_f64 v[169:170], v[107:108], -v[102:103]
	v_add_f64 v[139:140], v[151:152], v[157:158]
	v_fma_f64 v[151:152], v[94:95], s[0:1], v[127:128]
	v_fma_f64 v[155:156], v[92:93], s[6:7], v[129:130]
	v_add_f64 v[165:166], v[100:101], -v[105:106]
	v_add_f64 v[173:174], v[102:103], -v[107:108]
	v_fma_f64 v[127:128], v[94:95], s[6:7], v[127:128]
	v_fma_f64 v[153:154], v[121:122], s[6:7], v[80:81]
	;; [unrolled: 1-line block ×6, first 2 shown]
	v_add_f64 v[113:114], v[113:114], v[117:118]
	v_add_f64 v[86:87], v[115:116], v[86:87]
	;; [unrolled: 1-line block ×3, first 2 shown]
	v_fma_f64 v[100:101], v[175:176], s[2:3], v[135:136]
	v_fma_f64 v[117:118], v[177:178], s[16:17], v[147:148]
	v_add_f64 v[133:134], v[141:142], v[143:144]
	v_add_f64 v[98:99], v[98:99], v[102:103]
	v_fma_f64 v[102:103], v[175:176], s[16:17], v[119:120]
	v_fma_f64 v[115:116], v[111:112], s[2:3], v[145:146]
	;; [unrolled: 1-line block ×6, first 2 shown]
	v_add_f64 v[141:142], v[159:160], v[161:162]
	v_add_f64 v[159:160], v[167:168], v[169:170]
	v_fma_f64 v[135:136], v[121:122], s[2:3], v[151:152]
	v_fma_f64 v[147:148], v[125:126], s[16:17], v[155:156]
	v_add_f64 v[143:144], v[163:164], v[165:166]
	v_add_f64 v[161:162], v[171:172], v[173:174]
	v_fma_f64 v[121:122], v[121:122], s[16:17], v[127:128]
	v_fma_f64 v[127:128], v[94:95], s[2:3], v[153:154]
	;; [unrolled: 1-line block ×6, first 2 shown]
	v_mul_lo_u16 v3, v85, 10
	v_add_f64 v[76:77], v[113:114], v[88:89]
	v_add_f64 v[78:79], v[86:87], v[90:91]
	v_fma_f64 v[86:87], v[131:132], s[18:19], v[100:101]
	v_fma_f64 v[88:89], v[137:138], s[18:19], v[117:118]
	v_sub_nc_u16 v1, v84, v3
	v_mul_lo_u16 v3, v75, 10
	v_add_f64 v[80:81], v[96:97], v[105:106]
	v_fma_f64 v[94:95], v[133:134], s[18:19], v[115:116]
	v_fma_f64 v[96:97], v[139:140], s[18:19], v[123:124]
	v_add_f64 v[82:83], v[98:99], v[107:108]
	v_fma_f64 v[98:99], v[133:134], s[18:19], v[111:112]
	v_fma_f64 v[100:101], v[139:140], s[18:19], v[109:110]
	;; [unrolled: 1-line block ×8, first 2 shown]
	v_and_b32_e32 v73, 0xff, v1
	v_sub_nc_u16 v1, v244, v3
	v_fma_f64 v[114:115], v[143:144], s[18:19], v[145:146]
	v_fma_f64 v[116:117], v[161:162], s[18:19], v[151:152]
	v_mul_u32_u24_e32 v0, 10, v0
	v_fma_f64 v[106:107], v[141:142], s[18:19], v[121:122]
	v_fma_f64 v[108:109], v[159:160], s[18:19], v[125:126]
	v_lshlrev_b16 v2, 6, v1
	buffer_gl0_inv
	v_or_b32_e32 v0, v0, v74
	v_mad_u16 v1, v75, 50, v1
	v_and_b32_e32 v2, 0xffff, v2
	v_lshlrev_b32_e32 v241, 4, v0
	v_lshlrev_b32_e32 v0, 6, v73
	ds_write_b128 v242, v[76:79]
	ds_write_b128 v242, v[86:89] offset:32
	ds_write_b128 v242, v[94:97] offset:64
	;; [unrolled: 1-line block ×4, first 2 shown]
	ds_write_b128 v241, v[80:83]
	ds_write_b128 v241, v[102:105] offset:32
	ds_write_b128 v241, v[110:113] offset:64
	;; [unrolled: 1-line block ×4, first 2 shown]
	v_add_co_u32 v76, s20, s14, v2
	s_waitcnt lgkmcnt(0)
	s_barrier
	buffer_gl0_inv
	s_clause 0x3
	global_load_dwordx4 v[124:127], v0, s[14:15] offset:128
	global_load_dwordx4 v[120:123], v0, s[14:15] offset:144
	;; [unrolled: 1-line block ×4, first 2 shown]
	v_add_co_ci_u32_e64 v77, null, s15, 0, s20
	s_clause 0x3
	global_load_dwordx4 v[116:119], v[76:77], off offset:128
	global_load_dwordx4 v[112:115], v[76:77], off offset:144
	;; [unrolled: 1-line block ×4, first 2 shown]
	ds_read_b128 v[76:79], v233 offset:5600
	ds_read_b128 v[80:83], v233 offset:11200
	;; [unrolled: 1-line block ×8, first 2 shown]
	v_mov_b32_e32 v0, 50
	v_lshlrev_b32_sdwa v239, v72, v1 dst_sel:DWORD dst_unused:UNUSED_PAD src0_sel:DWORD src1_sel:WORD_0
	v_mul_u32_u24_sdwa v0, v85, v0 dst_sel:DWORD dst_unused:UNUSED_PAD src0_sel:WORD_0 src1_sel:DWORD
                                        ; implicit-def: $vgpr84_vgpr85
	v_add_lshl_u32 v240, v0, v73, 4
	s_waitcnt vmcnt(6) lgkmcnt(6)
	v_mul_f64 v[146:147], v[82:83], v[122:123]
	v_mul_f64 v[148:149], v[80:81], v[122:123]
	s_waitcnt vmcnt(5) lgkmcnt(5)
	v_mul_f64 v[150:151], v[88:89], v[106:107]
	v_mul_f64 v[154:155], v[86:87], v[106:107]
	;; [unrolled: 1-line block ×4, first 2 shown]
	s_waitcnt vmcnt(4) lgkmcnt(4)
	v_mul_f64 v[152:153], v[92:93], v[98:99]
	v_mul_f64 v[156:157], v[90:91], v[98:99]
	s_waitcnt vmcnt(2) lgkmcnt(2)
	v_mul_f64 v[162:163], v[134:135], v[114:115]
	v_mul_f64 v[164:165], v[132:133], v[114:115]
	;; [unrolled: 3-line block ×3, first 2 shown]
	v_mul_f64 v[158:159], v[130:131], v[118:119]
	v_mul_f64 v[160:161], v[128:129], v[118:119]
	s_waitcnt vmcnt(0) lgkmcnt(0)
	v_mul_f64 v[170:171], v[142:143], v[102:103]
	v_mul_f64 v[172:173], v[140:141], v[102:103]
	v_fma_f64 v[146:147], v[80:81], v[120:121], -v[146:147]
	v_fma_f64 v[148:149], v[82:83], v[120:121], v[148:149]
	v_fma_f64 v[86:87], v[86:87], v[104:105], -v[150:151]
	v_fma_f64 v[88:89], v[88:89], v[104:105], v[154:155]
	;; [unrolled: 2-line block ×8, first 2 shown]
	ds_read_b128 v[76:79], v233
	ds_read_b128 v[80:83], v233 offset:2800
	s_waitcnt lgkmcnt(0)
	s_barrier
	buffer_gl0_inv
	v_add_f64 v[158:159], v[146:147], v[86:87]
	v_add_f64 v[160:161], v[148:149], v[88:89]
	v_add_f64 v[150:151], v[94:95], -v[146:147]
	v_add_f64 v[154:155], v[144:145], -v[148:149]
	v_add_f64 v[170:171], v[94:95], v[90:91]
	v_add_f64 v[172:173], v[144:145], v[92:93]
	v_add_f64 v[162:163], v[144:145], -v[92:93]
	v_add_f64 v[166:167], v[94:95], -v[90:91]
	v_add_f64 v[182:183], v[132:133], v[136:137]
	v_add_f64 v[184:185], v[134:135], v[138:139]
	v_add_f64 v[164:165], v[148:149], -v[88:89]
	v_add_f64 v[174:175], v[76:77], v[94:95]
	v_add_f64 v[188:189], v[128:129], v[140:141]
	;; [unrolled: 1-line block ×6, first 2 shown]
	v_add_f64 v[168:169], v[146:147], -v[86:87]
	v_add_f64 v[94:95], v[146:147], -v[94:95]
	;; [unrolled: 1-line block ×5, first 2 shown]
	v_fma_f64 v[158:159], v[158:159], -0.5, v[76:77]
	v_fma_f64 v[160:161], v[160:161], -0.5, v[78:79]
	v_add_f64 v[152:153], v[90:91], -v[86:87]
	v_add_f64 v[156:157], v[92:93], -v[88:89]
	v_fma_f64 v[76:77], v[170:171], -0.5, v[76:77]
	v_fma_f64 v[78:79], v[172:173], -0.5, v[78:79]
	v_add_f64 v[186:187], v[128:129], -v[132:133]
	v_add_f64 v[192:193], v[140:141], -v[136:137]
	;; [unrolled: 1-line block ×4, first 2 shown]
	v_fma_f64 v[182:183], v[182:183], -0.5, v[80:81]
	v_fma_f64 v[184:185], v[184:185], -0.5, v[82:83]
	v_add_f64 v[200:201], v[134:135], -v[138:139]
	v_add_f64 v[204:205], v[132:133], -v[136:137]
	v_fma_f64 v[80:81], v[188:189], -0.5, v[80:81]
	v_fma_f64 v[82:83], v[190:191], -0.5, v[82:83]
	v_add_f64 v[146:147], v[174:175], v[146:147]
	v_add_f64 v[148:149], v[176:177], v[148:149]
	v_add_f64 v[194:195], v[130:131], -v[134:135]
	v_add_f64 v[128:129], v[132:133], -v[128:129]
	;; [unrolled: 1-line block ×5, first 2 shown]
	v_add_f64 v[132:133], v[206:207], v[132:133]
	v_add_f64 v[134:135], v[208:209], v[134:135]
	v_fma_f64 v[174:175], v[162:163], s[0:1], v[158:159]
	v_fma_f64 v[176:177], v[166:167], s[6:7], v[160:161]
	v_add_f64 v[94:95], v[94:95], v[178:179]
	v_add_f64 v[144:145], v[144:145], v[180:181]
	v_fma_f64 v[158:159], v[162:163], s[6:7], v[158:159]
	v_fma_f64 v[160:161], v[166:167], s[0:1], v[160:161]
	;; [unrolled: 1-line block ×6, first 2 shown]
	v_add_f64 v[196:197], v[142:143], -v[138:139]
	v_add_f64 v[150:151], v[150:151], v[152:153]
	v_add_f64 v[152:153], v[154:155], v[156:157]
	;; [unrolled: 1-line block ×3, first 2 shown]
	v_fma_f64 v[186:187], v[198:199], s[0:1], v[182:183]
	v_fma_f64 v[188:189], v[202:203], s[6:7], v[184:185]
	;; [unrolled: 1-line block ×8, first 2 shown]
	v_add_f64 v[86:87], v[146:147], v[86:87]
	v_add_f64 v[88:89], v[148:149], v[88:89]
	;; [unrolled: 1-line block ×6, first 2 shown]
	v_fma_f64 v[132:133], v[164:165], s[2:3], v[174:175]
	v_fma_f64 v[134:135], v[168:169], s[16:17], v[176:177]
	;; [unrolled: 1-line block ×8, first 2 shown]
	v_add_f64 v[156:157], v[194:195], v[196:197]
	v_fma_f64 v[158:159], v[200:201], s[2:3], v[186:187]
	v_fma_f64 v[160:161], v[204:205], s[16:17], v[188:189]
	;; [unrolled: 1-line block ×8, first 2 shown]
	v_add_f64 v[86:87], v[86:87], v[90:91]
	v_add_f64 v[88:89], v[88:89], v[92:93]
	s_load_dwordx2 s[2:3], s[4:5], 0x38
	v_add_f64 v[90:91], v[128:129], v[140:141]
	v_add_f64 v[92:93], v[130:131], v[142:143]
	v_fma_f64 v[128:129], v[150:151], s[18:19], v[132:133]
	v_fma_f64 v[130:131], v[152:153], s[18:19], v[134:135]
	v_fma_f64 v[132:133], v[150:151], s[18:19], v[136:137]
	v_fma_f64 v[134:135], v[152:153], s[18:19], v[138:139]
	v_fma_f64 v[136:137], v[94:95], s[18:19], v[146:147]
	v_fma_f64 v[138:139], v[144:145], s[18:19], v[148:149]
	v_fma_f64 v[140:141], v[94:95], s[18:19], v[76:77]
	v_fma_f64 v[142:143], v[144:145], s[18:19], v[78:79]
	v_fma_f64 v[144:145], v[154:155], s[18:19], v[158:159]
	v_fma_f64 v[146:147], v[156:157], s[18:19], v[160:161]
	v_fma_f64 v[80:81], v[154:155], s[18:19], v[162:163]
	v_fma_f64 v[152:153], v[170:171], s[18:19], v[164:165]
	v_fma_f64 v[154:155], v[172:173], s[18:19], v[166:167]
	v_fma_f64 v[76:77], v[170:171], s[18:19], v[168:169]
	v_fma_f64 v[78:79], v[172:173], s[18:19], v[82:83]
	v_fma_f64 v[82:83], v[156:157], s[18:19], v[174:175]
	ds_write_b128 v240, v[86:89]
	ds_write_b128 v240, v[128:131] offset:160
	ds_write_b128 v240, v[136:139] offset:320
	;; [unrolled: 1-line block ×4, first 2 shown]
	ds_write_b128 v239, v[90:93]
	ds_write_b128 v239, v[144:147] offset:160
	ds_write_b128 v239, v[152:155] offset:320
	;; [unrolled: 1-line block ×4, first 2 shown]
	s_waitcnt lgkmcnt(0)
	s_barrier
	buffer_gl0_inv
	ds_read_b128 v[156:159], v233
	ds_read_b128 v[164:167], v233 offset:4000
	ds_read_b128 v[136:139], v233 offset:8000
	;; [unrolled: 1-line block ×6, first 2 shown]
                                        ; implicit-def: $vgpr88_vgpr89
                                        ; implicit-def: $vgpr92_vgpr93
                                        ; implicit-def: $vgpr160_vgpr161
	s_and_saveexec_b32 s0, vcc_lo
	s_cbranch_execz .LBB0_3
; %bb.2:
	ds_read_b128 v[152:155], v233 offset:2800
	ds_read_b128 v[76:79], v233 offset:6800
	;; [unrolled: 1-line block ×7, first 2 shown]
.LBB0_3:
	s_or_b32 exec_lo, exec_lo, s0
	v_and_b32_e32 v0, 0xff, v234
	v_mov_b32_e32 v1, 0x147b
	s_mov_b32 s24, 0xaaaaaaaa
	s_mov_b32 s25, 0xbff2aaaa
	;; [unrolled: 1-line block ×3, first 2 shown]
	v_mul_lo_u16 v0, v0, 41
	s_mov_b32 s27, 0xbfe11646
	s_mov_b32 s6, 0x429ad128
	;; [unrolled: 1-line block ×4, first 2 shown]
	v_lshrrev_b16 v243, 11, v0
	s_mov_b32 s4, 0x37c3f68c
	s_mov_b32 s29, 0x3fe77f67
	;; [unrolled: 1-line block ×4, first 2 shown]
	v_mul_lo_u16 v0, v243, 50
	s_mov_b32 s17, 0x3fe948f6
	s_mov_b32 s20, 0xb247c609
	;; [unrolled: 1-line block ×4, first 2 shown]
	v_sub_nc_u16 v0, v234, v0
	s_mov_b32 s23, 0xbfd5d0dc
	s_mov_b32 s22, s20
	;; [unrolled: 1-line block ×3, first 2 shown]
	v_and_b32_e32 v246, 0xff, v0
	v_lshrrev_b16 v0, 1, v244
	v_mad_u64_u32 v[168:169], null, 0x60, v246, s[14:15]
	v_mul_u32_u24_sdwa v0, v0, v1 dst_sel:DWORD dst_unused:UNUSED_PAD src0_sel:WORD_0 src1_sel:DWORD
	s_clause 0x1
	global_load_dwordx4 v[132:135], v[168:169], off offset:768
	global_load_dwordx4 v[128:131], v[168:169], off offset:784
	v_lshrrev_b32_e32 v0, 17, v0
	buffer_store_dword v0, off, s[36:39], 0 offset:72 ; 4-byte Folded Spill
	v_mul_lo_u16 v0, v0, 50
	v_sub_nc_u16 v0, v244, v0
	buffer_store_dword v0, off, s[36:39], 0 offset:76 ; 4-byte Folded Spill
	v_mul_lo_u16 v0, 0x60, v0
	v_and_b32_e32 v0, 0xffff, v0
	s_waitcnt vmcnt(1) lgkmcnt(5)
	v_mul_f64 v[170:171], v[166:167], v[134:135]
	v_mul_f64 v[174:175], v[164:165], v[134:135]
	v_fma_f64 v[172:173], v[164:165], v[132:133], -v[170:171]
	v_fma_f64 v[164:165], v[166:167], v[132:133], v[174:175]
	s_waitcnt vmcnt(0) lgkmcnt(4)
	v_mul_f64 v[166:167], v[138:139], v[130:131]
	v_mul_f64 v[170:171], v[136:137], v[130:131]
	v_fma_f64 v[174:175], v[136:137], v[128:129], -v[166:167]
	v_fma_f64 v[166:167], v[138:139], v[128:129], v[170:171]
	global_load_dwordx4 v[136:139], v[168:169], off offset:800
	s_waitcnt vmcnt(0) lgkmcnt(3)
	v_mul_f64 v[170:171], v[142:143], v[138:139]
	v_fma_f64 v[178:179], v[140:141], v[136:137], -v[170:171]
	v_mul_f64 v[140:141], v[140:141], v[138:139]
	v_fma_f64 v[176:177], v[142:143], v[136:137], v[140:141]
	global_load_dwordx4 v[140:143], v[168:169], off offset:816
	s_waitcnt vmcnt(0) lgkmcnt(2)
	v_mul_f64 v[170:171], v[146:147], v[142:143]
	v_fma_f64 v[182:183], v[144:145], v[140:141], -v[170:171]
	v_mul_f64 v[144:145], v[144:145], v[142:143]
	v_add_f64 v[215:216], v[178:179], v[182:183]
	v_fma_f64 v[180:181], v[146:147], v[140:141], v[144:145]
	global_load_dwordx4 v[144:147], v[168:169], off offset:832
	v_add_f64 v[221:222], v[176:177], v[180:181]
	v_add_f64 v[176:177], v[180:181], -v[176:177]
	s_waitcnt vmcnt(0) lgkmcnt(1)
	v_mul_f64 v[170:171], v[150:151], v[146:147]
	v_fma_f64 v[186:187], v[148:149], v[144:145], -v[170:171]
	v_mul_f64 v[148:149], v[148:149], v[146:147]
	v_add_f64 v[217:218], v[174:175], v[186:187]
	v_fma_f64 v[184:185], v[150:151], v[144:145], v[148:149]
	global_load_dwordx4 v[148:151], v[168:169], off offset:848
	v_add_f64 v[223:224], v[166:167], v[184:185]
	v_add_f64 v[166:167], v[166:167], -v[184:185]
	v_add_f64 v[184:185], v[215:216], -v[217:218]
	s_waitcnt vmcnt(0) lgkmcnt(0)
	v_mul_f64 v[168:169], v[74:75], v[150:151]
	v_fma_f64 v[190:191], v[72:73], v[148:149], -v[168:169]
	v_mul_f64 v[72:73], v[72:73], v[150:151]
	v_add_co_u32 v168, s0, s14, v0
	v_add_co_ci_u32_e64 v169, null, s15, 0, s0
	v_mov_b32_e32 v0, 0x15e
	s_mov_b32 s0, 0x36b3c0b5
	s_mov_b32 s1, 0x3fac98ee
	v_mul_u32_u24_sdwa v0, v243, v0 dst_sel:DWORD dst_unused:UNUSED_PAD src0_sel:WORD_0 src1_sel:DWORD
	v_add_lshl_u32 v243, v0, v246, 4
	v_fma_f64 v[188:189], v[74:75], v[148:149], v[72:73]
	global_load_dwordx4 v[72:75], v[168:169], off offset:768
	v_add_f64 v[219:220], v[164:165], v[188:189]
	v_add_f64 v[180:181], v[164:165], -v[188:189]
	v_add_f64 v[188:189], v[221:222], -v[223:224]
	s_waitcnt vmcnt(0)
	v_mul_f64 v[170:171], v[78:79], v[74:75]
	v_fma_f64 v[194:195], v[76:77], v[72:73], -v[170:171]
	v_mul_f64 v[76:77], v[76:77], v[74:75]
	v_fma_f64 v[192:193], v[78:79], v[72:73], v[76:77]
	global_load_dwordx4 v[76:79], v[168:169], off offset:784
	s_waitcnt vmcnt(0)
	v_mul_f64 v[170:171], v[82:83], v[78:79]
	v_fma_f64 v[198:199], v[80:81], v[76:77], -v[170:171]
	v_mul_f64 v[80:81], v[80:81], v[78:79]
	v_fma_f64 v[196:197], v[82:83], v[76:77], v[80:81]
	global_load_dwordx4 v[80:83], v[168:169], off offset:800
	;; [unrolled: 6-line block ×3, first 2 shown]
	s_waitcnt vmcnt(0)
	v_mul_f64 v[170:171], v[90:91], v[86:87]
	v_fma_f64 v[207:208], v[88:89], v[84:85], -v[170:171]
	v_mul_f64 v[88:89], v[88:89], v[86:87]
	v_add_f64 v[231:232], v[203:204], v[207:208]
	v_fma_f64 v[205:206], v[90:91], v[84:85], v[88:89]
	global_load_dwordx4 v[88:91], v[168:169], off offset:832
	v_add_f64 v[251:252], v[201:202], v[205:206]
	s_waitcnt vmcnt(0)
	v_mul_f64 v[170:171], v[94:95], v[90:91]
	v_fma_f64 v[211:212], v[92:93], v[88:89], -v[170:171]
	v_mul_f64 v[92:93], v[92:93], v[90:91]
	v_add_f64 v[235:236], v[198:199], v[211:212]
	v_fma_f64 v[209:210], v[94:95], v[88:89], v[92:93]
	global_load_dwordx4 v[92:95], v[168:169], off offset:848
	s_waitcnt vmcnt(0)
	s_waitcnt_vscnt null, 0x0
	s_barrier
	buffer_gl0_inv
	v_add_f64 v[249:250], v[196:197], v[209:210]
	v_mul_f64 v[168:169], v[162:163], v[94:95]
	v_fma_f64 v[213:214], v[160:161], v[92:93], -v[168:169]
	v_mul_f64 v[160:161], v[160:161], v[94:95]
	v_add_f64 v[229:230], v[194:195], v[213:214]
	v_fma_f64 v[160:161], v[162:163], v[92:93], v[160:161]
	v_add_f64 v[162:163], v[172:173], v[190:191]
	v_add_f64 v[247:248], v[192:193], v[160:161]
	;; [unrolled: 1-line block ×3, first 2 shown]
	v_add_f64 v[160:161], v[192:193], -v[160:161]
	v_add_f64 v[192:193], v[235:236], -v[229:230]
	v_add_f64 v[225:226], v[215:216], v[168:169]
	v_add_f64 v[168:169], v[223:224], v[219:220]
	;; [unrolled: 1-line block ×8, first 2 shown]
	ds_write_b128 v243, v[156:159]
	v_add_f64 v[253:254], v[251:252], v[168:169]
	v_add_f64 v[168:169], v[152:153], v[237:238]
	v_fma_f64 v[152:153], v[225:226], s[24:25], v[156:157]
	v_add_f64 v[156:157], v[174:175], -v[186:187]
	v_add_f64 v[186:187], v[223:224], -v[219:220]
	v_add_f64 v[174:175], v[176:177], v[166:167]
	v_add_f64 v[170:171], v[154:155], v[253:254]
	v_fma_f64 v[154:155], v[227:228], s[24:25], v[158:159]
	v_add_f64 v[158:159], v[182:183], -v[178:179]
	v_add_f64 v[178:179], v[172:173], -v[190:191]
	;; [unrolled: 1-line block ×5, first 2 shown]
	v_mul_f64 v[166:167], v[188:189], s[0:1]
	v_add_f64 v[225:226], v[174:175], v[180:181]
	v_add_f64 v[172:173], v[158:159], -v[156:157]
	v_add_f64 v[164:165], v[158:159], v[156:157]
	v_add_f64 v[156:157], v[156:157], -v[178:179]
	v_mul_f64 v[190:191], v[190:191], s[26:27]
	v_add_f64 v[158:159], v[178:179], -v[158:159]
	v_fma_f64 v[166:167], v[186:187], s[28:29], -v[166:167]
	v_mul_f64 v[227:228], v[172:173], s[26:27]
	v_add_f64 v[223:224], v[164:165], v[178:179]
	v_mul_f64 v[164:165], v[184:185], s[0:1]
	v_add_f64 v[2:3], v[166:167], v[154:155]
	v_fma_f64 v[172:173], v[156:157], s[6:7], -v[227:228]
	v_mul_f64 v[156:157], v[156:157], s[6:7]
	v_fma_f64 v[164:165], v[182:183], s[28:29], -v[164:165]
	v_fma_f64 v[174:175], v[223:224], s[4:5], v[172:173]
	v_fma_f64 v[172:173], v[217:218], s[6:7], -v[190:191]
	v_add_f64 v[0:1], v[164:165], v[152:153]
	v_fma_f64 v[156:157], v[158:159], s[22:23], -v[156:157]
	v_add_f64 v[166:167], v[174:175], v[2:3]
	v_fma_f64 v[172:173], v[225:226], s[4:5], v[172:173]
	v_add_f64 v[174:175], v[2:3], -v[174:175]
	v_add_f64 v[2:3], v[219:220], -v[221:222]
	v_fma_f64 v[156:157], v[223:224], s[4:5], v[156:157]
	v_add_f64 v[164:165], v[0:1], -v[172:173]
	v_add_f64 v[172:173], v[172:173], v[0:1]
	v_add_f64 v[0:1], v[162:163], -v[215:216]
	v_add_f64 v[162:163], v[180:181], -v[176:177]
	v_mul_f64 v[176:177], v[217:218], s[6:7]
	v_mul_f64 v[2:3], v[2:3], s[16:17]
	;; [unrolled: 1-line block ×3, first 2 shown]
	v_fma_f64 v[176:177], v[162:163], s[22:23], -v[176:177]
	v_fma_f64 v[180:181], v[186:187], s[18:19], -v[2:3]
	v_fma_f64 v[2:3], v[188:189], s[0:1], v[2:3]
	v_fma_f64 v[178:179], v[182:183], s[18:19], -v[0:1]
	v_fma_f64 v[0:1], v[184:185], s[0:1], v[0:1]
	v_fma_f64 v[182:183], v[225:226], s[4:5], v[176:177]
	v_add_f64 v[215:216], v[180:181], v[154:155]
	v_add_f64 v[2:3], v[2:3], v[154:155]
	;; [unrolled: 1-line block ×4, first 2 shown]
	v_add_f64 v[152:153], v[196:197], -v[209:210]
	v_add_f64 v[178:179], v[215:216], -v[156:157]
	;; [unrolled: 1-line block ×3, first 2 shown]
	v_add_f64 v[176:177], v[182:183], v[186:187]
	v_add_f64 v[180:181], v[186:187], -v[182:183]
	v_add_f64 v[182:183], v[156:157], v[215:216]
	v_fma_f64 v[156:157], v[158:159], s[20:21], v[227:228]
	v_fma_f64 v[158:159], v[162:163], s[20:21], v[190:191]
	v_add_f64 v[162:163], v[194:195], -v[213:214]
	v_add_f64 v[194:195], v[205:206], -v[201:202]
	v_add_f64 v[200:201], v[251:252], -v[249:250]
	v_fma_f64 v[214:215], v[253:254], s[24:25], v[170:171]
	v_fma_f64 v[156:157], v[223:224], s[4:5], v[156:157]
	;; [unrolled: 1-line block ×3, first 2 shown]
	v_add_f64 v[186:187], v[2:3], -v[156:157]
	v_add_f64 v[184:185], v[158:159], v[0:1]
	v_add_f64 v[188:189], v[0:1], -v[158:159]
	v_add_f64 v[190:191], v[156:157], v[2:3]
	v_add_f64 v[0:1], v[198:199], -v[211:212]
	v_add_f64 v[2:3], v[207:208], -v[203:204]
	v_add_f64 v[158:159], v[194:195], v[152:153]
	v_add_f64 v[202:203], v[194:195], -v[152:153]
	v_add_f64 v[204:205], v[152:153], -v[160:161]
	ds_write_b128 v243, v[184:187] offset:800
	ds_write_b128 v243, v[176:179] offset:1600
	;; [unrolled: 1-line block ×6, first 2 shown]
	v_add_f64 v[164:165], v[229:230], -v[231:232]
	v_add_f64 v[166:167], v[247:248], -v[251:252]
	;; [unrolled: 1-line block ×4, first 2 shown]
	v_add_f64 v[154:155], v[2:3], v[0:1]
	v_add_f64 v[0:1], v[0:1], -v[162:163]
	v_add_f64 v[2:3], v[162:163], -v[2:3]
	v_add_f64 v[208:209], v[158:159], v[160:161]
	v_mul_f64 v[202:203], v[202:203], s[26:27]
	v_add_f64 v[160:161], v[160:161], -v[194:195]
	v_mul_f64 v[152:153], v[196:197], s[0:1]
	v_fma_f64 v[212:213], v[237:238], s[24:25], v[168:169]
	v_add_nc_u32_e32 v232, 0x5780, v245
	v_mul_f64 v[210:211], v[156:157], s[26:27]
	v_add_f64 v[206:207], v[154:155], v[162:163]
	v_mul_f64 v[154:155], v[200:201], s[0:1]
	v_mul_f64 v[162:163], v[164:165], s[16:17]
	v_fma_f64 v[174:175], v[160:161], s[20:21], v[202:203]
	v_fma_f64 v[152:153], v[192:193], s[28:29], -v[152:153]
	v_fma_f64 v[156:157], v[0:1], s[6:7], -v[210:211]
	v_mul_f64 v[0:1], v[0:1], s[6:7]
	v_fma_f64 v[172:173], v[2:3], s[20:21], v[210:211]
	v_fma_f64 v[154:155], v[198:199], s[28:29], -v[154:155]
	v_fma_f64 v[164:165], v[196:197], s[0:1], v[162:163]
	v_fma_f64 v[162:163], v[192:193], s[18:19], -v[162:163]
	v_add_f64 v[216:217], v[152:153], v[212:213]
	v_fma_f64 v[158:159], v[206:207], s[4:5], v[156:157]
	v_fma_f64 v[0:1], v[2:3], s[22:23], -v[0:1]
	v_mul_f64 v[2:3], v[204:205], s[6:7]
	v_fma_f64 v[156:157], v[204:205], s[6:7], -v[202:203]
	v_add_f64 v[218:219], v[154:155], v[214:215]
	v_fma_f64 v[176:177], v[206:207], s[4:5], v[172:173]
	v_fma_f64 v[172:173], v[208:209], s[4:5], v[174:175]
	v_add_f64 v[178:179], v[164:165], v[212:213]
	v_add_f64 v[180:181], v[162:163], v[212:213]
	v_fma_f64 v[184:185], v[206:207], s[4:5], v[0:1]
	v_fma_f64 v[2:3], v[160:161], s[22:23], -v[2:3]
	v_mul_f64 v[160:161], v[166:167], s[16:17]
	v_fma_f64 v[156:157], v[208:209], s[4:5], v[156:157]
	v_add_f64 v[154:155], v[158:159], v[218:219]
	v_add_f64 v[158:159], v[218:219], -v[158:159]
	v_add_f64 v[164:165], v[178:179], -v[172:173]
	v_add_nc_u32_e32 v0, 0x2bc0, v245
	buffer_store_dword v0, off, s[36:39], 0 offset:92 ; 4-byte Folded Spill
	v_add_nc_u32_e32 v0, 0x41a0, v245
	buffer_store_dword v0, off, s[36:39], 0 offset:88 ; 4-byte Folded Spill
	v_fma_f64 v[174:175], v[208:209], s[4:5], v[2:3]
	v_fma_f64 v[166:167], v[198:199], s[18:19], -v[160:161]
	v_fma_f64 v[160:161], v[200:201], s[0:1], v[160:161]
	v_add_f64 v[152:153], v[216:217], -v[156:157]
	v_add_f64 v[156:157], v[156:157], v[216:217]
	v_add_f64 v[186:187], v[166:167], v[214:215]
	;; [unrolled: 1-line block ×3, first 2 shown]
	v_add_f64 v[160:161], v[180:181], -v[174:175]
	v_add_f64 v[162:163], v[184:185], v[186:187]
	v_add_f64 v[166:167], v[176:177], v[182:183]
	s_and_saveexec_b32 s0, vcc_lo
	s_cbranch_execz .LBB0_5
; %bb.4:
	s_clause 0x1
	buffer_load_dword v0, off, s[36:39], 0 offset:72
	buffer_load_dword v1, off, s[36:39], 0 offset:76
	v_add_f64 v[184:185], v[186:187], -v[184:185]
	v_add_f64 v[188:189], v[182:183], -v[176:177]
	v_add_f64 v[186:187], v[172:173], v[178:179]
	v_add_f64 v[182:183], v[174:175], v[180:181]
	s_waitcnt vmcnt(0)
	v_mad_u16 v0, 0x15e, v0, v1
	v_mov_b32_e32 v1, 4
	v_lshlrev_b32_sdwa v0, v1, v0 dst_sel:DWORD dst_unused:UNUSED_PAD src0_sel:DWORD src1_sel:WORD_0
	ds_write_b128 v0, v[168:171]
	ds_write_b128 v0, v[152:155] offset:2400
	ds_write_b128 v0, v[156:159] offset:3200
	ds_write_b128 v0, v[160:163] offset:4000
	ds_write_b128 v0, v[186:189] offset:800
	ds_write_b128 v0, v[182:185] offset:1600
	ds_write_b128 v0, v[164:167] offset:4800
.LBB0_5:
	s_or_b32 exec_lo, exec_lo, s0
	v_lshlrev_b32_e32 v0, 6, v234
	s_waitcnt lgkmcnt(0)
	s_waitcnt_vscnt null, 0x0
	s_barrier
	buffer_gl0_inv
	v_lshlrev_b32_e32 v4, 6, v244
	v_add_co_u32 v2, s0, s14, v0
	v_add_co_ci_u32_e64 v3, null, s15, 0, s0
	s_mov_b32 s17, 0xbfee6f0e
	v_add_co_u32 v0, s0, 0x1000, v2
	v_add_co_ci_u32_e64 v1, s0, 0, v3, s0
	v_add_co_u32 v2, s0, 0x15c0, v2
	v_add_co_ci_u32_e64 v3, s0, 0, v3, s0
	global_load_dwordx4 v[168:171], v[0:1], off offset:1472
	ds_read_b128 v[176:179], v233 offset:5600
	ds_read_b128 v[192:195], v233 offset:8400
	v_add_co_u32 v4, s0, s14, v4
	global_load_dwordx4 v[172:175], v[2:3], off offset:48
	v_add_co_ci_u32_e64 v5, null, s15, 0, s0
	s_mov_b32 s14, 0x134454ff
	s_mov_b32 s15, 0x3fee6f0e
	s_mov_b32 s16, s14
	s_mov_b32 s4, 0x4755a5e
	s_mov_b32 s5, 0x3fe2cf23
	s_mov_b32 s7, 0xbfe2cf23
	s_mov_b32 s6, s4
	s_mov_b32 s18, 0x372fe950
	s_mov_b32 s19, 0x3fd3c6ef
	s_waitcnt vmcnt(1) lgkmcnt(1)
	v_mul_f64 v[0:1], v[178:179], v[170:171]
	v_fma_f64 v[0:1], v[176:177], v[168:169], -v[0:1]
	v_mul_f64 v[176:177], v[176:177], v[170:171]
	v_fma_f64 v[200:201], v[178:179], v[168:169], v[176:177]
	s_clause 0x1
	global_load_dwordx4 v[180:183], v[2:3], off offset:16
	global_load_dwordx4 v[176:179], v[2:3], off offset:32
	ds_read_b128 v[184:187], v233 offset:11200
	ds_read_b128 v[204:207], v233 offset:14000
	s_waitcnt vmcnt(1) lgkmcnt(1)
	v_mul_f64 v[2:3], v[186:187], v[182:183]
	v_fma_f64 v[2:3], v[184:185], v[180:181], -v[2:3]
	v_mul_f64 v[184:185], v[184:185], v[182:183]
	v_fma_f64 v[202:203], v[186:187], v[180:181], v[184:185]
	ds_read_b128 v[184:187], v233 offset:16800
	ds_read_b128 v[208:211], v233 offset:19600
	s_waitcnt vmcnt(0) lgkmcnt(1)
	v_mul_f64 v[188:189], v[186:187], v[178:179]
	v_fma_f64 v[220:221], v[184:185], v[176:177], -v[188:189]
	v_mul_f64 v[184:185], v[184:185], v[178:179]
	v_add_f64 v[10:11], v[2:3], -v[220:221]
	v_fma_f64 v[222:223], v[186:187], v[176:177], v[184:185]
	ds_read_b128 v[184:187], v233 offset:22400
	ds_read_b128 v[212:215], v233 offset:25200
	s_waitcnt lgkmcnt(1)
	v_mul_f64 v[188:189], v[184:185], v[174:175]
	v_add_f64 v[246:247], v[202:203], -v[222:223]
	v_fma_f64 v[224:225], v[186:187], v[172:173], v[188:189]
	v_mul_f64 v[186:187], v[186:187], v[174:175]
	v_add_f64 v[244:245], v[200:201], -v[224:225]
	v_fma_f64 v[226:227], v[184:185], v[172:173], -v[186:187]
	v_add_co_u32 v184, s0, 0x1000, v4
	v_add_co_ci_u32_e64 v185, s0, 0, v5, s0
	v_add_co_u32 v216, s0, 0x15c0, v4
	v_add_co_ci_u32_e64 v217, s0, 0, v5, s0
	s_clause 0x1
	global_load_dwordx4 v[188:191], v[184:185], off offset:1472
	global_load_dwordx4 v[184:187], v[216:217], off offset:48
	v_add_f64 v[8:9], v[0:1], -v[226:227]
	s_waitcnt vmcnt(1)
	v_mul_f64 v[196:197], v[194:195], v[190:191]
	s_waitcnt vmcnt(0) lgkmcnt(0)
	v_mul_f64 v[6:7], v[212:213], v[186:187]
	v_fma_f64 v[235:236], v[192:193], v[188:189], -v[196:197]
	v_mul_f64 v[192:193], v[192:193], v[190:191]
	v_fma_f64 v[6:7], v[214:215], v[184:185], v[6:7]
	v_fma_f64 v[237:238], v[194:195], v[188:189], v[192:193]
	s_clause 0x1
	global_load_dwordx4 v[196:199], v[216:217], off offset:16
	global_load_dwordx4 v[192:195], v[216:217], off offset:32
	s_waitcnt vmcnt(1)
	v_mul_f64 v[216:217], v[206:207], v[198:199]
	v_fma_f64 v[248:249], v[204:205], v[196:197], -v[216:217]
	v_mul_f64 v[204:205], v[204:205], v[198:199]
	v_fma_f64 v[250:251], v[206:207], v[196:197], v[204:205]
	s_waitcnt vmcnt(0)
	v_mul_f64 v[204:205], v[210:211], v[194:195]
	v_add_f64 v[206:207], v[226:227], -v[220:221]
	v_fma_f64 v[252:253], v[208:209], v[192:193], -v[204:205]
	v_mul_f64 v[204:205], v[208:209], v[194:195]
	v_add_f64 v[12:13], v[248:249], -v[252:253]
	v_fma_f64 v[254:255], v[210:211], v[192:193], v[204:205]
	v_mul_f64 v[204:205], v[214:215], v[186:187]
	v_fma_f64 v[4:5], v[212:213], v[184:185], -v[204:205]
	v_add_f64 v[204:205], v[0:1], -v[2:3]
	v_add_f64 v[212:213], v[2:3], v[220:221]
	v_add_f64 v[14:15], v[235:236], -v[4:5]
	v_add_f64 v[216:217], v[204:205], v[206:207]
	v_add_f64 v[204:205], v[200:201], -v[202:203]
	v_add_f64 v[206:207], v[224:225], -v[222:223]
	v_add_f64 v[218:219], v[204:205], v[206:207]
	ds_read_b128 v[204:207], v233
	ds_read_b128 v[208:211], v233 offset:2800
	s_waitcnt lgkmcnt(1)
	v_fma_f64 v[228:229], v[212:213], -0.5, v[204:205]
	v_add_f64 v[212:213], v[202:203], v[222:223]
	v_fma_f64 v[230:231], v[212:213], -0.5, v[206:207]
	v_fma_f64 v[212:213], v[244:245], s[14:15], v[228:229]
	v_fma_f64 v[228:229], v[244:245], s[16:17], v[228:229]
	;; [unrolled: 1-line block ×10, first 2 shown]
	v_add_f64 v[228:229], v[0:1], v[226:227]
	v_fma_f64 v[214:215], v[218:219], s[18:19], v[214:215]
	v_fma_f64 v[218:219], v[218:219], s[18:19], v[230:231]
	v_add_f64 v[230:231], v[200:201], v[224:225]
	v_fma_f64 v[228:229], v[228:229], -0.5, v[204:205]
	v_add_f64 v[204:205], v[204:205], v[0:1]
	v_add_f64 v[0:1], v[2:3], -v[0:1]
	v_fma_f64 v[230:231], v[230:231], -0.5, v[206:207]
	v_add_f64 v[206:207], v[206:207], v[200:201]
	v_add_f64 v[200:201], v[202:203], -v[200:201]
	v_add_f64 v[2:3], v[204:205], v[2:3]
	v_add_f64 v[204:205], v[206:207], v[202:203]
	;; [unrolled: 1-line block ×3, first 2 shown]
	v_add_f64 v[220:221], v[220:221], -v[226:227]
	v_add_f64 v[202:203], v[204:205], v[222:223]
	v_add_f64 v[204:205], v[2:3], v[226:227]
	v_add_f64 v[2:3], v[222:223], -v[224:225]
	v_fma_f64 v[222:223], v[246:247], s[14:15], v[228:229]
	v_add_f64 v[0:1], v[0:1], v[220:221]
	v_add_f64 v[206:207], v[202:203], v[224:225]
	v_fma_f64 v[202:203], v[246:247], s[16:17], v[228:229]
	v_fma_f64 v[224:225], v[10:11], s[14:15], v[230:231]
	;; [unrolled: 1-line block ×3, first 2 shown]
	v_add_f64 v[2:3], v[200:201], v[2:3]
	v_fma_f64 v[200:201], v[244:245], s[4:5], v[202:203]
	v_fma_f64 v[202:203], v[244:245], s[6:7], v[222:223]
	;; [unrolled: 1-line block ×4, first 2 shown]
	v_add_f64 v[10:11], v[237:238], v[6:7]
	v_fma_f64 v[220:221], v[0:1], s[18:19], v[200:201]
	v_fma_f64 v[224:225], v[0:1], s[18:19], v[202:203]
	;; [unrolled: 1-line block ×4, first 2 shown]
	v_add_f64 v[0:1], v[248:249], -v[235:236]
	v_add_f64 v[2:3], v[252:253], -v[4:5]
	v_add_f64 v[8:9], v[254:255], -v[6:7]
	s_waitcnt lgkmcnt(0)
	v_fma_f64 v[10:11], v[10:11], -0.5, v[210:211]
	v_add_f64 v[200:201], v[250:251], -v[254:255]
	v_add_f64 v[202:203], v[237:238], -v[6:7]
	v_add_f64 v[0:1], v[0:1], v[2:3]
	v_add_f64 v[2:3], v[250:251], -v[237:238]
	v_fma_f64 v[230:231], v[12:13], s[14:15], v[10:11]
	v_fma_f64 v[10:11], v[12:13], s[16:17], v[10:11]
	v_add_f64 v[2:3], v[2:3], v[8:9]
	v_add_f64 v[8:9], v[235:236], v[4:5]
	v_fma_f64 v[10:11], v[14:15], s[4:5], v[10:11]
	v_fma_f64 v[230:231], v[14:15], s[6:7], v[230:231]
	v_fma_f64 v[8:9], v[8:9], -0.5, v[208:209]
	v_fma_f64 v[246:247], v[2:3], s[18:19], v[10:11]
	v_add_f64 v[10:11], v[210:211], v[237:238]
	v_fma_f64 v[230:231], v[2:3], s[18:19], v[230:231]
	v_add_f64 v[2:3], v[250:251], v[254:255]
	v_add_f64 v[237:238], v[237:238], -v[250:251]
	v_fma_f64 v[228:229], v[200:201], s[16:17], v[8:9]
	v_fma_f64 v[8:9], v[200:201], s[14:15], v[8:9]
	v_add_f64 v[10:11], v[10:11], v[250:251]
	v_fma_f64 v[2:3], v[2:3], -0.5, v[210:211]
	v_fma_f64 v[228:229], v[202:203], s[4:5], v[228:229]
	v_fma_f64 v[8:9], v[202:203], s[6:7], v[8:9]
	v_add_f64 v[10:11], v[10:11], v[254:255]
	v_fma_f64 v[228:229], v[0:1], s[18:19], v[228:229]
	v_fma_f64 v[244:245], v[0:1], s[18:19], v[8:9]
	v_add_f64 v[8:9], v[208:209], v[235:236]
	v_add_f64 v[0:1], v[248:249], v[252:253]
	v_add_f64 v[235:236], v[235:236], -v[248:249]
	v_add_f64 v[210:211], v[10:11], v[6:7]
	v_add_f64 v[8:9], v[8:9], v[248:249]
	v_fma_f64 v[0:1], v[0:1], -0.5, v[208:209]
	v_add_f64 v[248:249], v[4:5], -v[252:253]
	v_add_f64 v[8:9], v[8:9], v[252:253]
	v_add_f64 v[10:11], v[235:236], v[248:249]
	;; [unrolled: 1-line block ×3, first 2 shown]
	v_add_f64 v[4:5], v[6:7], -v[254:255]
	v_fma_f64 v[6:7], v[202:203], s[14:15], v[0:1]
	v_fma_f64 v[0:1], v[202:203], s[16:17], v[0:1]
	;; [unrolled: 1-line block ×4, first 2 shown]
	v_add_f64 v[4:5], v[237:238], v[4:5]
	v_fma_f64 v[6:7], v[200:201], s[4:5], v[6:7]
	v_fma_f64 v[0:1], v[200:201], s[6:7], v[0:1]
	v_fma_f64 v[8:9], v[12:13], s[6:7], v[8:9]
	v_fma_f64 v[2:3], v[12:13], s[4:5], v[2:3]
	v_fma_f64 v[248:249], v[10:11], s[18:19], v[6:7]
	v_fma_f64 v[252:253], v[10:11], s[18:19], v[0:1]
	v_lshlrev_b32_e32 v0, 4, v234
	v_fma_f64 v[250:251], v[4:5], s[18:19], v[8:9]
	v_fma_f64 v[254:255], v[4:5], s[18:19], v[2:3]
	ds_write_b128 v233, v[204:207]
	ds_write_b128 v233, v[208:211] offset:2800
	ds_write_b128 v233, v[212:215] offset:5600
	;; [unrolled: 1-line block ×9, first 2 shown]
	v_add_co_u32 v4, s0, s12, v0
	v_add_co_ci_u32_e64 v5, null, s13, 0, s0
	s_waitcnt lgkmcnt(0)
	v_add_co_u32 v0, s0, 0x6800, v4
	v_add_co_ci_u32_e64 v1, s0, 0, v5, s0
	v_add_co_u32 v2, s0, 0xa000, v4
	v_add_co_ci_u32_e64 v3, s0, 0, v5, s0
	s_barrier
	buffer_gl0_inv
	s_clause 0x1
	global_load_dwordx4 v[204:207], v[0:1], off offset:1376
	global_load_dwordx4 v[208:211], v[2:3], off offset:1040
	ds_read_b128 v[212:215], v233
	ds_read_b128 v[216:219], v233 offset:2800
	s_waitcnt vmcnt(1) lgkmcnt(1)
	v_mul_f64 v[0:1], v[214:215], v[206:207]
	v_mul_f64 v[2:3], v[212:213], v[206:207]
	v_fma_f64 v[212:213], v[212:213], v[204:205], -v[0:1]
	v_fma_f64 v[214:215], v[214:215], v[204:205], v[2:3]
	ds_read_b128 v[204:207], v233 offset:14000
	ds_read_b128 v[220:223], v233 offset:11200
	s_waitcnt vmcnt(0) lgkmcnt(1)
	v_mul_f64 v[0:1], v[206:207], v[210:211]
	v_mul_f64 v[2:3], v[204:205], v[210:211]
	v_fma_f64 v[204:205], v[204:205], v[208:209], -v[0:1]
	v_add_co_u32 v0, s0, 0x7800, v4
	v_add_co_ci_u32_e64 v1, s0, 0, v5, s0
	v_fma_f64 v[206:207], v[206:207], v[208:209], v[2:3]
	v_add_co_u32 v2, s0, 0xa800, v4
	v_add_co_ci_u32_e64 v3, s0, 0, v5, s0
	s_clause 0x1
	global_load_dwordx4 v[208:211], v[0:1], off offset:80
	global_load_dwordx4 v[224:227], v[2:3], off offset:1792
	s_waitcnt vmcnt(1)
	v_mul_f64 v[0:1], v[218:219], v[210:211]
	v_mul_f64 v[2:3], v[216:217], v[210:211]
	v_fma_f64 v[216:217], v[216:217], v[208:209], -v[0:1]
	v_fma_f64 v[218:219], v[218:219], v[208:209], v[2:3]
	ds_read_b128 v[208:211], v233 offset:16800
	ds_read_b128 v[228:231], v233 offset:19600
	s_waitcnt vmcnt(0) lgkmcnt(1)
	v_mul_f64 v[0:1], v[210:211], v[226:227]
	v_mul_f64 v[2:3], v[208:209], v[226:227]
	v_fma_f64 v[208:209], v[208:209], v[224:225], -v[0:1]
	v_add_co_u32 v0, s0, 0x8000, v4
	v_add_co_ci_u32_e64 v1, s0, 0, v5, s0
	v_fma_f64 v[210:211], v[210:211], v[224:225], v[2:3]
	v_add_co_u32 v2, s0, 0xb800, v4
	v_add_co_ci_u32_e64 v3, s0, 0, v5, s0
	s_clause 0x1
	global_load_dwordx4 v[224:227], v[0:1], off offset:832
	global_load_dwordx4 v[244:247], v[2:3], off offset:496
	ds_read_b128 v[248:251], v233 offset:5600
	ds_read_b128 v[252:255], v233 offset:8400
	s_waitcnt vmcnt(1) lgkmcnt(1)
	v_mul_f64 v[0:1], v[250:251], v[226:227]
	v_mul_f64 v[2:3], v[248:249], v[226:227]
	v_fma_f64 v[248:249], v[248:249], v[224:225], -v[0:1]
	s_waitcnt vmcnt(0)
	v_mul_f64 v[0:1], v[230:231], v[246:247]
	v_fma_f64 v[250:251], v[250:251], v[224:225], v[2:3]
	v_mul_f64 v[2:3], v[228:229], v[246:247]
	v_fma_f64 v[224:225], v[228:229], v[244:245], -v[0:1]
	v_add_co_u32 v0, s0, 0x8800, v4
	v_add_co_ci_u32_e64 v1, s0, 0, v5, s0
	v_fma_f64 v[226:227], v[230:231], v[244:245], v[2:3]
	v_add_co_u32 v2, s0, 0xc000, v4
	v_add_co_ci_u32_e64 v3, s0, 0, v5, s0
	s_clause 0x1
	global_load_dwordx4 v[228:231], v[0:1], off offset:1584
	global_load_dwordx4 v[244:247], v[2:3], off offset:1248
	s_waitcnt vmcnt(1) lgkmcnt(0)
	v_mul_f64 v[0:1], v[254:255], v[230:231]
	v_mul_f64 v[2:3], v[252:253], v[230:231]
	v_fma_f64 v[252:253], v[252:253], v[228:229], -v[0:1]
	v_fma_f64 v[254:255], v[254:255], v[228:229], v[2:3]
	ds_read_b128 v[228:231], v233 offset:22400
	ds_read_b128 v[235:238], v233 offset:25200
	s_waitcnt vmcnt(0) lgkmcnt(1)
	v_mul_f64 v[0:1], v[230:231], v[246:247]
	v_mul_f64 v[2:3], v[228:229], v[246:247]
	v_fma_f64 v[228:229], v[228:229], v[244:245], -v[0:1]
	v_add_co_u32 v0, s0, 0x9800, v4
	v_add_co_ci_u32_e64 v1, s0, 0, v5, s0
	v_fma_f64 v[230:231], v[230:231], v[244:245], v[2:3]
	v_add_co_u32 v2, s0, 0xc800, v4
	v_add_co_ci_u32_e64 v3, s0, 0, v5, s0
	s_clause 0x1
	global_load_dwordx4 v[244:247], v[0:1], off offset:288
	global_load_dwordx4 v[200:203], v[2:3], off offset:2000
	s_waitcnt vmcnt(1)
	v_mul_f64 v[0:1], v[222:223], v[246:247]
	v_mul_f64 v[2:3], v[220:221], v[246:247]
	v_fma_f64 v[220:221], v[220:221], v[244:245], -v[0:1]
	v_fma_f64 v[222:223], v[222:223], v[244:245], v[2:3]
	s_waitcnt vmcnt(0) lgkmcnt(0)
	v_mul_f64 v[0:1], v[237:238], v[202:203]
	v_mul_f64 v[2:3], v[235:236], v[202:203]
	v_fma_f64 v[235:236], v[235:236], v[200:201], -v[0:1]
	v_fma_f64 v[237:238], v[237:238], v[200:201], v[2:3]
	ds_write_b128 v233, v[212:215]
	ds_write_b128 v233, v[204:207] offset:14000
	ds_write_b128 v233, v[216:219] offset:2800
	;; [unrolled: 1-line block ×9, first 2 shown]
	s_waitcnt lgkmcnt(0)
	s_barrier
	buffer_gl0_inv
	ds_read_b128 v[200:203], v233 offset:14000
	ds_read_b128 v[204:207], v233
	ds_read_b128 v[208:211], v233 offset:2800
	ds_read_b128 v[212:215], v233 offset:11200
	;; [unrolled: 1-line block ×8, first 2 shown]
	s_waitcnt lgkmcnt(0)
	s_barrier
	buffer_gl0_inv
	buffer_load_dword v0, off, s[36:39], 0 offset:84 ; 4-byte Folded Reload
	v_add_f64 v[200:201], v[204:205], -v[200:201]
	v_add_f64 v[202:203], v[206:207], -v[202:203]
	v_fma_f64 v[204:205], v[204:205], 2.0, -v[200:201]
	v_fma_f64 v[206:207], v[206:207], 2.0, -v[202:203]
	s_waitcnt vmcnt(0)
	ds_write_b128 v0, v[200:203] offset:16
	ds_write_b128 v0, v[204:207]
	buffer_load_dword v0, off, s[36:39], 0 offset:80 ; 4-byte Folded Reload
	v_add_f64 v[200:201], v[208:209], -v[216:217]
	v_add_f64 v[202:203], v[210:211], -v[218:219]
	v_fma_f64 v[204:205], v[208:209], 2.0, -v[200:201]
	v_fma_f64 v[206:207], v[210:211], 2.0, -v[202:203]
	s_waitcnt vmcnt(0)
	ds_write_b128 v0, v[200:203] offset:16
	ds_write_b128 v0, v[204:207]
	buffer_load_dword v0, off, s[36:39], 0 offset:92 ; 4-byte Folded Reload
	v_add_f64 v[200:201], v[224:225], -v[220:221]
	v_add_f64 v[202:203], v[226:227], -v[222:223]
	v_fma_f64 v[204:205], v[224:225], 2.0, -v[200:201]
	v_fma_f64 v[206:207], v[226:227], 2.0, -v[202:203]
	s_waitcnt vmcnt(0)
	ds_write_b128 v0, v[200:203] offset:16
	ds_write_b128 v0, v[204:207]
	buffer_load_dword v0, off, s[36:39], 0 offset:88 ; 4-byte Folded Reload
	v_add_f64 v[200:201], v[228:229], -v[235:236]
	v_add_f64 v[202:203], v[230:231], -v[237:238]
	v_fma_f64 v[204:205], v[228:229], 2.0, -v[200:201]
	v_fma_f64 v[206:207], v[230:231], 2.0, -v[202:203]
	s_waitcnt vmcnt(0)
	ds_write_b128 v0, v[200:203] offset:16
	ds_write_b128 v0, v[204:207]
	v_add_f64 v[200:201], v[212:213], -v[244:245]
	v_add_f64 v[202:203], v[214:215], -v[246:247]
	v_fma_f64 v[204:205], v[212:213], 2.0, -v[200:201]
	v_fma_f64 v[206:207], v[214:215], 2.0, -v[202:203]
	ds_write_b128 v232, v[200:203] offset:16
	ds_write_b128 v232, v[204:207]
	s_waitcnt lgkmcnt(0)
	s_barrier
	buffer_gl0_inv
	ds_read_b128 v[200:203], v233 offset:5600
	ds_read_b128 v[204:207], v233 offset:8400
	s_waitcnt lgkmcnt(1)
	v_mul_f64 v[0:1], v[70:71], v[202:203]
	v_mul_f64 v[2:3], v[70:71], v[200:201]
	v_fma_f64 v[0:1], v[68:69], v[200:201], v[0:1]
	v_fma_f64 v[2:3], v[68:69], v[202:203], -v[2:3]
	ds_read_b128 v[68:71], v233 offset:11200
	ds_read_b128 v[200:203], v233 offset:14000
	s_waitcnt lgkmcnt(1)
	v_mul_f64 v[4:5], v[66:67], v[70:71]
	v_mul_f64 v[6:7], v[66:67], v[68:69]
	v_fma_f64 v[4:5], v[64:65], v[68:69], v[4:5]
	v_fma_f64 v[6:7], v[64:65], v[70:71], -v[6:7]
	;; [unrolled: 7-line block ×3, first 2 shown]
	ds_read_b128 v[52:55], v233 offset:22400
	ds_read_b128 v[64:67], v233 offset:25200
	s_waitcnt lgkmcnt(1)
	v_mul_f64 v[12:13], v[42:43], v[52:53]
	v_mul_f64 v[14:15], v[42:43], v[54:55]
	v_fma_f64 v[12:13], v[40:41], v[54:55], -v[12:13]
	v_fma_f64 v[14:15], v[40:41], v[52:53], v[14:15]
	v_mul_f64 v[40:41], v[62:63], v[206:207]
	v_add_f64 v[42:43], v[8:9], -v[14:15]
	v_fma_f64 v[208:209], v[60:61], v[204:205], v[40:41]
	v_mul_f64 v[40:41], v[62:63], v[204:205]
	v_add_f64 v[62:63], v[2:3], -v[12:13]
	v_add_f64 v[210:211], v[0:1], -v[14:15]
	v_fma_f64 v[204:205], v[60:61], v[206:207], -v[40:41]
	v_mul_f64 v[40:41], v[58:59], v[202:203]
	v_add_f64 v[60:61], v[6:7], -v[10:11]
	v_fma_f64 v[206:207], v[56:57], v[200:201], v[40:41]
	v_mul_f64 v[40:41], v[58:59], v[200:201]
	v_fma_f64 v[200:201], v[56:57], v[202:203], -v[40:41]
	v_mul_f64 v[40:41], v[50:51], v[70:71]
	v_fma_f64 v[202:203], v[48:49], v[68:69], v[40:41]
	v_mul_f64 v[40:41], v[50:51], v[68:69]
	v_fma_f64 v[68:69], v[48:49], v[70:71], -v[40:41]
	s_waitcnt lgkmcnt(0)
	v_mul_f64 v[40:41], v[46:47], v[66:67]
	v_add_f64 v[48:49], v[0:1], v[14:15]
	v_fma_f64 v[70:71], v[44:45], v[64:65], v[40:41]
	v_mul_f64 v[40:41], v[46:47], v[64:65]
	v_fma_f64 v[64:65], v[44:45], v[66:67], -v[40:41]
	v_add_f64 v[40:41], v[4:5], -v[0:1]
	v_add_f64 v[66:67], v[4:5], -v[8:9]
	v_add_f64 v[52:53], v[40:41], v[42:43]
	v_add_f64 v[40:41], v[6:7], -v[2:3]
	v_add_f64 v[42:43], v[10:11], -v[12:13]
	v_add_f64 v[54:55], v[40:41], v[42:43]
	ds_read_b128 v[40:43], v233
	ds_read_b128 v[44:47], v233 offset:2800
	s_waitcnt lgkmcnt(0)
	s_barrier
	buffer_gl0_inv
	v_fma_f64 v[56:57], v[48:49], -0.5, v[40:41]
	v_add_f64 v[48:49], v[2:3], v[12:13]
	v_fma_f64 v[58:59], v[48:49], -0.5, v[42:43]
	v_fma_f64 v[48:49], v[60:61], s[14:15], v[56:57]
	v_fma_f64 v[56:57], v[60:61], s[16:17], v[56:57]
	;; [unrolled: 1-line block ×10, first 2 shown]
	v_add_f64 v[56:57], v[4:5], v[8:9]
	v_fma_f64 v[50:51], v[54:55], s[18:19], v[50:51]
	v_fma_f64 v[54:55], v[54:55], s[18:19], v[58:59]
	v_add_f64 v[58:59], v[6:7], v[10:11]
	v_fma_f64 v[56:57], v[56:57], -0.5, v[40:41]
	v_add_f64 v[40:41], v[40:41], v[0:1]
	v_add_f64 v[0:1], v[0:1], -v[4:5]
	v_fma_f64 v[58:59], v[58:59], -0.5, v[42:43]
	v_add_f64 v[42:43], v[42:43], v[2:3]
	v_add_f64 v[2:3], v[2:3], -v[6:7]
	v_add_f64 v[4:5], v[40:41], v[4:5]
	v_add_f64 v[40:41], v[42:43], v[6:7]
	;; [unrolled: 1-line block ×3, first 2 shown]
	v_add_f64 v[8:9], v[14:15], -v[8:9]
	v_add_f64 v[6:7], v[40:41], v[10:11]
	v_add_f64 v[40:41], v[4:5], v[14:15]
	v_add_f64 v[4:5], v[12:13], -v[10:11]
	v_fma_f64 v[10:11], v[62:63], s[14:15], v[56:57]
	v_fma_f64 v[14:15], v[210:211], s[16:17], v[58:59]
	v_add_f64 v[0:1], v[0:1], v[8:9]
	v_add_f64 v[42:43], v[6:7], v[12:13]
	v_fma_f64 v[6:7], v[62:63], s[16:17], v[56:57]
	v_fma_f64 v[12:13], v[210:211], s[14:15], v[58:59]
	v_add_f64 v[2:3], v[2:3], v[4:5]
	v_fma_f64 v[4:5], v[60:61], s[6:7], v[6:7]
	v_fma_f64 v[6:7], v[60:61], s[4:5], v[10:11]
	;; [unrolled: 1-line block ×4, first 2 shown]
	v_add_f64 v[14:15], v[206:207], -v[202:203]
	v_fma_f64 v[56:57], v[0:1], s[18:19], v[4:5]
	v_fma_f64 v[60:61], v[0:1], s[18:19], v[6:7]
	;; [unrolled: 1-line block ×4, first 2 shown]
	v_add_f64 v[0:1], v[206:207], -v[208:209]
	v_add_f64 v[2:3], v[202:203], -v[70:71]
	;; [unrolled: 1-line block ×3, first 2 shown]
	v_add_f64 v[6:7], v[204:205], v[64:65]
	v_add_f64 v[8:9], v[200:201], -v[68:69]
	ds_write_b128 v242, v[40:43]
	ds_write_b128 v242, v[56:59] offset:32
	ds_write_b128 v242, v[48:51] offset:64
	;; [unrolled: 1-line block ×4, first 2 shown]
	v_add_f64 v[10:11], v[204:205], -v[64:65]
	v_add_f64 v[52:53], v[208:209], -v[70:71]
	;; [unrolled: 1-line block ×3, first 2 shown]
	v_add_f64 v[0:1], v[0:1], v[2:3]
	v_add_f64 v[2:3], v[200:201], -v[204:205]
	v_fma_f64 v[6:7], v[6:7], -0.5, v[46:47]
	v_add_f64 v[56:57], v[70:71], -v[202:203]
	v_add_f64 v[2:3], v[2:3], v[4:5]
	v_add_f64 v[4:5], v[208:209], v[70:71]
	v_fma_f64 v[40:41], v[14:15], s[16:17], v[6:7]
	v_fma_f64 v[6:7], v[14:15], s[14:15], v[6:7]
	v_fma_f64 v[4:5], v[4:5], -0.5, v[44:45]
	v_fma_f64 v[42:43], v[52:53], s[4:5], v[40:41]
	v_fma_f64 v[6:7], v[52:53], s[6:7], v[6:7]
	;; [unrolled: 1-line block ×5, first 2 shown]
	v_add_f64 v[6:7], v[46:47], v[204:205]
	v_fma_f64 v[42:43], v[2:3], s[18:19], v[42:43]
	v_add_f64 v[2:3], v[200:201], v[68:69]
	v_fma_f64 v[12:13], v[10:11], s[6:7], v[12:13]
	v_fma_f64 v[4:5], v[10:11], s[4:5], v[4:5]
	v_add_f64 v[6:7], v[6:7], v[200:201]
	v_fma_f64 v[2:3], v[2:3], -0.5, v[46:47]
	v_fma_f64 v[40:41], v[0:1], s[18:19], v[12:13]
	v_fma_f64 v[48:49], v[0:1], s[18:19], v[4:5]
	v_add_f64 v[4:5], v[44:45], v[208:209]
	v_add_f64 v[0:1], v[206:207], v[202:203]
	;; [unrolled: 1-line block ×3, first 2 shown]
	v_add_f64 v[12:13], v[208:209], -v[206:207]
	v_add_f64 v[4:5], v[4:5], v[206:207]
	v_fma_f64 v[0:1], v[0:1], -0.5, v[44:45]
	v_add_f64 v[46:47], v[6:7], v[64:65]
	v_add_f64 v[12:13], v[12:13], v[56:57]
	;; [unrolled: 1-line block ×3, first 2 shown]
	v_fma_f64 v[6:7], v[10:11], s[16:17], v[0:1]
	v_fma_f64 v[0:1], v[10:11], s[14:15], v[0:1]
	;; [unrolled: 1-line block ×4, first 2 shown]
	v_add_f64 v[44:45], v[4:5], v[70:71]
	v_add_f64 v[4:5], v[64:65], -v[68:69]
	v_fma_f64 v[6:7], v[8:9], s[6:7], v[6:7]
	v_fma_f64 v[0:1], v[8:9], s[4:5], v[0:1]
	v_fma_f64 v[8:9], v[14:15], s[4:5], v[10:11]
	v_fma_f64 v[2:3], v[14:15], s[6:7], v[2:3]
	v_add_f64 v[4:5], v[54:55], v[4:5]
	v_fma_f64 v[52:53], v[12:13], s[18:19], v[6:7]
	v_fma_f64 v[56:57], v[12:13], s[18:19], v[0:1]
	;; [unrolled: 1-line block ×4, first 2 shown]
	ds_write_b128 v241, v[44:47]
	ds_write_b128 v241, v[52:55] offset:32
	ds_write_b128 v241, v[40:43] offset:64
	ds_write_b128 v241, v[48:51] offset:96
	ds_write_b128 v241, v[56:59] offset:128
	s_waitcnt lgkmcnt(0)
	s_barrier
	buffer_gl0_inv
	ds_read_b128 v[40:43], v233 offset:5600
	ds_read_b128 v[44:47], v233 offset:8400
	s_waitcnt lgkmcnt(1)
	v_mul_f64 v[0:1], v[126:127], v[42:43]
	v_mul_f64 v[2:3], v[126:127], v[40:41]
	v_fma_f64 v[0:1], v[124:125], v[40:41], v[0:1]
	v_fma_f64 v[2:3], v[124:125], v[42:43], -v[2:3]
	ds_read_b128 v[40:43], v233 offset:11200
	ds_read_b128 v[48:51], v233 offset:14000
	s_waitcnt lgkmcnt(1)
	v_mul_f64 v[4:5], v[122:123], v[42:43]
	v_mul_f64 v[6:7], v[122:123], v[40:41]
	v_fma_f64 v[4:5], v[120:121], v[40:41], v[4:5]
	v_fma_f64 v[6:7], v[120:121], v[42:43], -v[6:7]
	;; [unrolled: 7-line block ×3, first 2 shown]
	ds_read_b128 v[40:43], v233 offset:22400
	ds_read_b128 v[56:59], v233 offset:25200
	s_waitcnt lgkmcnt(1)
	v_mul_f64 v[14:15], v[98:99], v[42:43]
	v_mul_f64 v[12:13], v[98:99], v[40:41]
	v_add_f64 v[64:65], v[6:7], -v[10:11]
	v_add_f64 v[68:69], v[4:5], -v[8:9]
	v_fma_f64 v[14:15], v[96:97], v[40:41], v[14:15]
	v_mul_f64 v[40:41], v[118:119], v[46:47]
	v_fma_f64 v[12:13], v[96:97], v[42:43], -v[12:13]
	s_waitcnt lgkmcnt(0)
	v_mul_f64 v[42:43], v[102:103], v[56:57]
	v_add_f64 v[70:71], v[0:1], -v[14:15]
	v_fma_f64 v[96:97], v[116:117], v[44:45], v[40:41]
	v_mul_f64 v[40:41], v[118:119], v[44:45]
	v_add_f64 v[44:45], v[6:7], -v[2:3]
	v_add_f64 v[66:67], v[2:3], -v[12:13]
	v_fma_f64 v[98:99], v[116:117], v[46:47], -v[40:41]
	v_mul_f64 v[40:41], v[114:115], v[50:51]
	v_add_f64 v[46:47], v[10:11], -v[12:13]
	v_fma_f64 v[104:105], v[112:113], v[48:49], v[40:41]
	v_mul_f64 v[40:41], v[114:115], v[48:49]
	v_add_f64 v[44:45], v[44:45], v[46:47]
	v_fma_f64 v[106:107], v[112:113], v[50:51], -v[40:41]
	v_mul_f64 v[40:41], v[110:111], v[54:55]
	v_fma_f64 v[112:113], v[108:109], v[52:53], v[40:41]
	v_mul_f64 v[40:41], v[110:111], v[52:53]
	v_add_f64 v[52:53], v[0:1], v[14:15]
	v_fma_f64 v[108:109], v[108:109], v[54:55], -v[40:41]
	v_mul_f64 v[40:41], v[102:103], v[58:59]
	v_fma_f64 v[102:103], v[100:101], v[56:57], v[40:41]
	v_fma_f64 v[100:101], v[100:101], v[58:59], -v[42:43]
	v_add_f64 v[40:41], v[4:5], -v[0:1]
	v_add_f64 v[42:43], v[8:9], -v[14:15]
	;; [unrolled: 1-line block ×3, first 2 shown]
	v_add_f64 v[56:57], v[40:41], v[42:43]
	ds_read_b128 v[40:43], v233
	ds_read_b128 v[48:51], v233 offset:2800
	s_waitcnt lgkmcnt(0)
	s_barrier
	buffer_gl0_inv
	v_fma_f64 v[46:47], v[52:53], -0.5, v[40:41]
	v_add_f64 v[52:53], v[2:3], v[12:13]
	v_fma_f64 v[58:59], v[52:53], -0.5, v[42:43]
	v_fma_f64 v[52:53], v[64:65], s[14:15], v[46:47]
	v_fma_f64 v[46:47], v[64:65], s[16:17], v[46:47]
	;; [unrolled: 1-line block ×10, first 2 shown]
	v_add_f64 v[46:47], v[6:7], v[10:11]
	v_fma_f64 v[54:55], v[44:45], s[18:19], v[54:55]
	v_fma_f64 v[58:59], v[44:45], s[18:19], v[58:59]
	v_add_f64 v[44:45], v[4:5], v[8:9]
	v_fma_f64 v[46:47], v[46:47], -0.5, v[42:43]
	v_add_f64 v[42:43], v[42:43], v[2:3]
	v_add_f64 v[2:3], v[2:3], -v[6:7]
	v_fma_f64 v[44:45], v[44:45], -0.5, v[40:41]
	v_add_f64 v[40:41], v[40:41], v[0:1]
	v_add_f64 v[0:1], v[0:1], -v[4:5]
	v_add_f64 v[4:5], v[40:41], v[4:5]
	v_add_f64 v[40:41], v[42:43], v[6:7]
	;; [unrolled: 1-line block ×4, first 2 shown]
	v_add_f64 v[8:9], v[14:15], -v[8:9]
	v_add_f64 v[60:61], v[4:5], v[14:15]
	v_add_f64 v[62:63], v[6:7], v[12:13]
	v_add_f64 v[4:5], v[12:13], -v[10:11]
	v_fma_f64 v[6:7], v[66:67], s[16:17], v[44:45]
	v_fma_f64 v[10:11], v[66:67], s[14:15], v[44:45]
	v_fma_f64 v[12:13], v[70:71], s[14:15], v[46:47]
	v_fma_f64 v[14:15], v[70:71], s[16:17], v[46:47]
	v_add_f64 v[0:1], v[0:1], v[8:9]
	v_add_f64 v[2:3], v[2:3], v[4:5]
	v_fma_f64 v[4:5], v[64:65], s[6:7], v[6:7]
	v_fma_f64 v[6:7], v[64:65], s[4:5], v[10:11]
	;; [unrolled: 1-line block ×4, first 2 shown]
	v_add_f64 v[14:15], v[104:105], -v[112:113]
	v_fma_f64 v[64:65], v[0:1], s[18:19], v[4:5]
	v_fma_f64 v[68:69], v[0:1], s[18:19], v[6:7]
	;; [unrolled: 1-line block ×4, first 2 shown]
	v_add_f64 v[0:1], v[104:105], -v[96:97]
	v_add_f64 v[2:3], v[112:113], -v[102:103]
	;; [unrolled: 1-line block ×3, first 2 shown]
	v_add_f64 v[6:7], v[98:99], v[100:101]
	v_add_f64 v[8:9], v[106:107], -v[108:109]
	v_add_f64 v[10:11], v[98:99], -v[100:101]
	v_add_f64 v[0:1], v[0:1], v[2:3]
	v_add_f64 v[2:3], v[106:107], -v[98:99]
	v_fma_f64 v[6:7], v[6:7], -0.5, v[50:51]
	v_add_f64 v[2:3], v[2:3], v[4:5]
	v_add_f64 v[4:5], v[96:97], v[102:103]
	v_fma_f64 v[40:41], v[14:15], s[16:17], v[6:7]
	v_fma_f64 v[6:7], v[14:15], s[14:15], v[6:7]
	v_fma_f64 v[4:5], v[4:5], -0.5, v[48:49]
	v_fma_f64 v[42:43], v[110:111], s[4:5], v[40:41]
	v_fma_f64 v[6:7], v[110:111], s[6:7], v[6:7]
	;; [unrolled: 1-line block ×5, first 2 shown]
	v_add_f64 v[6:7], v[50:51], v[98:99]
	v_fma_f64 v[42:43], v[2:3], s[18:19], v[42:43]
	v_add_f64 v[2:3], v[106:107], v[108:109]
	v_fma_f64 v[12:13], v[10:11], s[6:7], v[12:13]
	v_fma_f64 v[4:5], v[10:11], s[4:5], v[4:5]
	v_add_f64 v[6:7], v[6:7], v[106:107]
	v_fma_f64 v[2:3], v[2:3], -0.5, v[50:51]
	v_add_f64 v[50:51], v[102:103], -v[112:113]
	v_fma_f64 v[40:41], v[0:1], s[18:19], v[12:13]
	v_fma_f64 v[44:45], v[0:1], s[18:19], v[4:5]
	v_add_f64 v[4:5], v[48:49], v[96:97]
	v_add_f64 v[0:1], v[104:105], v[112:113]
	;; [unrolled: 1-line block ×3, first 2 shown]
	v_add_f64 v[12:13], v[96:97], -v[104:105]
	v_add_f64 v[4:5], v[4:5], v[104:105]
	v_fma_f64 v[0:1], v[0:1], -0.5, v[48:49]
	v_add_f64 v[48:49], v[98:99], -v[106:107]
	v_add_f64 v[98:99], v[6:7], v[100:101]
	v_add_f64 v[12:13], v[12:13], v[50:51]
	;; [unrolled: 1-line block ×3, first 2 shown]
	v_fma_f64 v[6:7], v[10:11], s[16:17], v[0:1]
	v_fma_f64 v[0:1], v[10:11], s[14:15], v[0:1]
	v_fma_f64 v[10:11], v[110:111], s[14:15], v[2:3]
	v_fma_f64 v[2:3], v[110:111], s[16:17], v[2:3]
	v_add_f64 v[96:97], v[4:5], v[102:103]
	v_add_f64 v[4:5], v[100:101], -v[108:109]
	v_fma_f64 v[6:7], v[8:9], s[6:7], v[6:7]
	v_fma_f64 v[0:1], v[8:9], s[4:5], v[0:1]
	;; [unrolled: 1-line block ×4, first 2 shown]
	v_add_f64 v[4:5], v[48:49], v[4:5]
	v_fma_f64 v[100:101], v[12:13], s[18:19], v[6:7]
	v_fma_f64 v[48:49], v[12:13], s[18:19], v[0:1]
	;; [unrolled: 1-line block ×4, first 2 shown]
	ds_write_b128 v240, v[60:63]
	ds_write_b128 v240, v[64:67] offset:160
	ds_write_b128 v240, v[52:55] offset:320
	;; [unrolled: 1-line block ×4, first 2 shown]
	ds_write_b128 v239, v[96:99]
	ds_write_b128 v239, v[100:103] offset:160
	ds_write_b128 v239, v[40:43] offset:320
	;; [unrolled: 1-line block ×4, first 2 shown]
	s_waitcnt lgkmcnt(0)
	s_barrier
	buffer_gl0_inv
	ds_read_b128 v[52:55], v233
	ds_read_b128 v[96:99], v233 offset:4000
	ds_read_b128 v[68:71], v233 offset:8000
	ds_read_b128 v[60:63], v233 offset:12000
	ds_read_b128 v[56:59], v233 offset:16000
	ds_read_b128 v[64:67], v233 offset:20000
	ds_read_b128 v[100:103], v233 offset:24000
	s_and_saveexec_b32 s0, vcc_lo
	s_cbranch_execz .LBB0_7
; %bb.6:
	ds_read_b128 v[40:43], v233 offset:2800
	ds_read_b128 v[44:47], v233 offset:6800
	ds_read_b128 v[48:51], v233 offset:10800
	ds_read_b128 v[152:155], v233 offset:14800
	ds_read_b128 v[156:159], v233 offset:18800
	ds_read_b128 v[160:163], v233 offset:22800
	ds_read_b128 v[164:167], v233 offset:26800
.LBB0_7:
	s_or_b32 exec_lo, exec_lo, s0
	s_waitcnt lgkmcnt(5)
	v_mul_f64 v[0:1], v[134:135], v[98:99]
	v_mul_f64 v[2:3], v[134:135], v[96:97]
	s_waitcnt lgkmcnt(4)
	v_mul_f64 v[4:5], v[130:131], v[70:71]
	v_mul_f64 v[6:7], v[130:131], v[68:69]
	;; [unrolled: 3-line block ×3, first 2 shown]
	v_mul_f64 v[12:13], v[146:147], v[66:67]
	v_mul_f64 v[14:15], v[146:147], v[64:65]
	;; [unrolled: 1-line block ×6, first 2 shown]
	s_mov_b32 s6, 0x37e14327
	s_mov_b32 s14, 0xe976ee23
	;; [unrolled: 1-line block ×10, first 2 shown]
	v_fma_f64 v[0:1], v[132:133], v[96:97], v[0:1]
	v_fma_f64 v[2:3], v[132:133], v[98:99], -v[2:3]
	v_fma_f64 v[4:5], v[128:129], v[68:69], v[4:5]
	v_fma_f64 v[6:7], v[128:129], v[70:71], -v[6:7]
	;; [unrolled: 2-line block ×6, first 2 shown]
	s_mov_b32 s13, 0xbff2aaaa
	s_mov_b32 s16, 0x5476071b
	;; [unrolled: 1-line block ×10, first 2 shown]
	s_barrier
	buffer_gl0_inv
	v_add_f64 v[64:65], v[0:1], v[8:9]
	v_add_f64 v[66:67], v[2:3], v[10:11]
	;; [unrolled: 1-line block ×4, first 2 shown]
	v_add_f64 v[4:5], v[4:5], -v[12:13]
	v_add_f64 v[6:7], v[6:7], -v[14:15]
	v_add_f64 v[12:13], v[60:61], v[56:57]
	v_add_f64 v[14:15], v[62:63], v[58:59]
	v_add_f64 v[56:57], v[56:57], -v[60:61]
	v_add_f64 v[58:59], v[58:59], -v[62:63]
	;; [unrolled: 1-line block ×4, first 2 shown]
	v_add_f64 v[8:9], v[68:69], v[64:65]
	v_add_f64 v[10:11], v[70:71], v[66:67]
	v_add_f64 v[60:61], v[64:65], -v[12:13]
	v_add_f64 v[62:63], v[66:67], -v[14:15]
	;; [unrolled: 1-line block ×6, first 2 shown]
	v_add_f64 v[4:5], v[56:57], v[4:5]
	v_add_f64 v[6:7], v[58:59], v[6:7]
	v_add_f64 v[56:57], v[0:1], -v[56:57]
	v_add_f64 v[58:59], v[2:3], -v[58:59]
	;; [unrolled: 1-line block ×4, first 2 shown]
	v_add_f64 v[8:9], v[12:13], v[8:9]
	v_add_f64 v[10:11], v[14:15], v[10:11]
	v_add_f64 v[12:13], v[12:13], -v[68:69]
	v_add_f64 v[14:15], v[14:15], -v[70:71]
	v_mul_f64 v[60:61], v[60:61], s[6:7]
	v_mul_f64 v[62:63], v[62:63], s[6:7]
	;; [unrolled: 1-line block ×6, first 2 shown]
	v_add_f64 v[0:1], v[4:5], v[0:1]
	v_add_f64 v[2:3], v[6:7], v[2:3]
	;; [unrolled: 1-line block ×4, first 2 shown]
	v_mul_f64 v[68:69], v[12:13], s[4:5]
	v_mul_f64 v[70:71], v[14:15], s[4:5]
	v_fma_f64 v[4:5], v[12:13], s[4:5], v[60:61]
	v_fma_f64 v[6:7], v[14:15], s[4:5], v[62:63]
	;; [unrolled: 1-line block ×4, first 2 shown]
	v_fma_f64 v[96:97], v[100:101], s[0:1], -v[96:97]
	v_fma_f64 v[98:99], v[102:103], s[0:1], -v[98:99]
	;; [unrolled: 1-line block ×6, first 2 shown]
	v_fma_f64 v[8:9], v[8:9], s[12:13], v[52:53]
	v_fma_f64 v[10:11], v[10:11], s[12:13], v[54:55]
	v_fma_f64 v[64:65], v[64:65], s[16:17], -v[68:69]
	v_fma_f64 v[66:67], v[66:67], s[16:17], -v[70:71]
	v_fma_f64 v[12:13], v[0:1], s[24:25], v[12:13]
	v_fma_f64 v[14:15], v[2:3], s[24:25], v[14:15]
	;; [unrolled: 1-line block ×6, first 2 shown]
	v_add_f64 v[4:5], v[4:5], v[8:9]
	v_add_f64 v[6:7], v[6:7], v[10:11]
	;; [unrolled: 1-line block ×7, first 2 shown]
	v_add_f64 v[58:59], v[6:7], -v[12:13]
	v_add_f64 v[60:61], v[2:3], v[96:97]
	v_add_f64 v[62:63], v[98:99], -v[0:1]
	v_add_f64 v[64:65], v[8:9], -v[68:69]
	v_add_f64 v[66:67], v[70:71], v[10:11]
	v_add_f64 v[68:69], v[68:69], v[8:9]
	v_add_f64 v[70:71], v[10:11], -v[70:71]
	v_add_f64 v[96:97], v[96:97], -v[2:3]
	v_add_f64 v[98:99], v[0:1], v[98:99]
	v_add_f64 v[100:101], v[4:5], -v[14:15]
	v_add_f64 v[102:103], v[12:13], v[6:7]
	ds_write_b128 v243, v[52:55]
	ds_write_b128 v243, v[56:59] offset:800
	ds_write_b128 v243, v[60:63] offset:1600
	;; [unrolled: 1-line block ×6, first 2 shown]
	s_and_saveexec_b32 s26, vcc_lo
	s_cbranch_execz .LBB0_9
; %bb.8:
	v_mul_f64 v[0:1], v[94:95], v[164:165]
	v_mul_f64 v[2:3], v[74:75], v[44:45]
	;; [unrolled: 1-line block ×12, first 2 shown]
	v_fma_f64 v[0:1], v[92:93], v[166:167], -v[0:1]
	v_fma_f64 v[2:3], v[72:73], v[46:47], -v[2:3]
	;; [unrolled: 1-line block ×4, first 2 shown]
	v_fma_f64 v[8:9], v[72:73], v[44:45], v[8:9]
	v_fma_f64 v[10:11], v[92:93], v[164:165], v[10:11]
	;; [unrolled: 1-line block ×6, first 2 shown]
	v_fma_f64 v[48:49], v[80:81], v[154:155], -v[56:57]
	v_fma_f64 v[50:51], v[84:85], v[158:159], -v[58:59]
	v_add_f64 v[52:53], v[2:3], v[0:1]
	v_add_f64 v[0:1], v[2:3], -v[0:1]
	v_add_f64 v[54:55], v[6:7], v[4:5]
	v_add_f64 v[4:5], v[6:7], -v[4:5]
	;; [unrolled: 2-line block ×4, first 2 shown]
	v_add_f64 v[60:61], v[44:45], -v[46:47]
	v_add_f64 v[44:45], v[46:47], v[44:45]
	v_add_f64 v[14:15], v[48:49], v[50:51]
	v_add_f64 v[46:47], v[50:51], -v[48:49]
	v_add_f64 v[10:11], v[54:55], v[52:53]
	v_add_f64 v[66:67], v[4:5], -v[0:1]
	;; [unrolled: 2-line block ×3, first 2 shown]
	v_add_f64 v[6:7], v[60:61], -v[12:13]
	v_add_f64 v[50:51], v[56:57], -v[44:45]
	;; [unrolled: 1-line block ×5, first 2 shown]
	v_add_f64 v[12:13], v[60:61], v[12:13]
	v_add_f64 v[4:5], v[46:47], v[4:5]
	v_add_f64 v[46:47], v[0:1], -v[46:47]
	v_add_f64 v[52:53], v[54:55], -v[52:53]
	;; [unrolled: 1-line block ×3, first 2 shown]
	v_add_f64 v[10:11], v[14:15], v[10:11]
	v_add_f64 v[14:15], v[14:15], -v[54:55]
	v_mul_f64 v[70:71], v[66:67], s[0:1]
	v_add_f64 v[2:3], v[44:45], v[2:3]
	v_add_f64 v[44:45], v[44:45], -v[58:59]
	v_mul_f64 v[6:7], v[6:7], s[14:15]
	v_mul_f64 v[50:51], v[50:51], s[6:7]
	;; [unrolled: 1-line block ×5, first 2 shown]
	v_add_f64 v[8:9], v[12:13], v[8:9]
	v_add_f64 v[0:1], v[4:5], v[0:1]
	;; [unrolled: 1-line block ×3, first 2 shown]
	v_mul_f64 v[54:55], v[14:15], s[4:5]
	v_add_f64 v[40:41], v[40:41], v[2:3]
	v_mul_f64 v[58:59], v[44:45], s[4:5]
	v_fma_f64 v[4:5], v[68:69], s[20:21], v[6:7]
	v_fma_f64 v[6:7], v[62:63], s[0:1], -v[6:7]
	v_fma_f64 v[12:13], v[14:15], s[4:5], v[48:49]
	v_fma_f64 v[14:15], v[44:45], s[4:5], v[50:51]
	v_fma_f64 v[44:45], v[68:69], s[22:23], -v[60:61]
	v_fma_f64 v[48:49], v[52:53], s[18:19], -v[48:49]
	;; [unrolled: 1-line block ×4, first 2 shown]
	v_fma_f64 v[10:11], v[10:11], s[12:13], v[42:43]
	v_fma_f64 v[52:53], v[52:53], s[16:17], -v[54:55]
	v_fma_f64 v[54:55], v[46:47], s[20:21], v[64:65]
	v_fma_f64 v[46:47], v[46:47], s[22:23], -v[70:71]
	;; [unrolled: 2-line block ×3, first 2 shown]
	v_fma_f64 v[4:5], v[8:9], s[24:25], v[4:5]
	v_fma_f64 v[6:7], v[8:9], s[24:25], v[6:7]
	;; [unrolled: 1-line block ×3, first 2 shown]
	v_add_f64 v[8:9], v[12:13], v[10:11]
	v_add_f64 v[12:13], v[48:49], v[10:11]
	v_fma_f64 v[68:69], v[0:1], s[24:25], v[54:55]
	v_fma_f64 v[48:49], v[0:1], s[24:25], v[46:47]
	;; [unrolled: 1-line block ×3, first 2 shown]
	v_add_f64 v[14:15], v[14:15], v[2:3]
	v_add_f64 v[70:71], v[50:51], v[2:3]
	;; [unrolled: 1-line block ×4, first 2 shown]
	v_add_f64 v[66:67], v[8:9], -v[4:5]
	v_add_f64 v[62:63], v[12:13], -v[44:45]
	v_add_f64 v[50:51], v[44:45], v[12:13]
	v_add_f64 v[46:47], v[4:5], v[8:9]
	;; [unrolled: 1-line block ×4, first 2 shown]
	v_add_f64 v[56:57], v[2:3], -v[0:1]
	v_add_f64 v[52:53], v[0:1], v[2:3]
	s_clause 0x1
	buffer_load_dword v0, off, s[36:39], 0 offset:72
	buffer_load_dword v1, off, s[36:39], 0 offset:76
	v_add_f64 v[58:59], v[6:7], v[10:11]
	v_add_f64 v[54:55], v[10:11], -v[6:7]
	v_add_f64 v[48:49], v[70:71], -v[48:49]
	;; [unrolled: 1-line block ×3, first 2 shown]
	s_waitcnt vmcnt(0)
	v_mad_u16 v0, 0x15e, v0, v1
	v_mov_b32_e32 v1, 4
	v_lshlrev_b32_sdwa v0, v1, v0 dst_sel:DWORD dst_unused:UNUSED_PAD src0_sel:DWORD src1_sel:WORD_0
	ds_write_b128 v0, v[40:43]
	ds_write_b128 v0, v[64:67] offset:800
	ds_write_b128 v0, v[60:63] offset:1600
	;; [unrolled: 1-line block ×6, first 2 shown]
.LBB0_9:
	s_or_b32 exec_lo, exec_lo, s26
	s_waitcnt lgkmcnt(0)
	s_barrier
	buffer_gl0_inv
	ds_read_b128 v[40:43], v233 offset:5600
	ds_read_b128 v[44:47], v233 offset:11200
	;; [unrolled: 1-line block ×8, first 2 shown]
	s_mov_b32 s4, 0x134454ff
	s_mov_b32 s5, 0xbfee6f0e
	;; [unrolled: 1-line block ×8, first 2 shown]
	s_waitcnt lgkmcnt(7)
	v_mul_f64 v[0:1], v[170:171], v[42:43]
	s_waitcnt lgkmcnt(6)
	v_mul_f64 v[4:5], v[182:183], v[46:47]
	v_mul_f64 v[6:7], v[182:183], v[44:45]
	s_waitcnt lgkmcnt(5)
	v_mul_f64 v[8:9], v[178:179], v[50:51]
	;; [unrolled: 3-line block ×3, first 2 shown]
	v_mul_f64 v[2:3], v[170:171], v[40:41]
	v_mul_f64 v[10:11], v[174:175], v[52:53]
	s_waitcnt lgkmcnt(3)
	v_mul_f64 v[72:73], v[190:191], v[58:59]
	v_mul_f64 v[74:75], v[190:191], v[56:57]
	s_waitcnt lgkmcnt(2)
	;; [unrolled: 3-line block ×4, first 2 shown]
	v_mul_f64 v[84:85], v[186:187], v[70:71]
	v_mul_f64 v[86:87], v[186:187], v[68:69]
	v_fma_f64 v[0:1], v[168:169], v[40:41], v[0:1]
	v_fma_f64 v[4:5], v[180:181], v[44:45], v[4:5]
	v_fma_f64 v[6:7], v[180:181], v[46:47], -v[6:7]
	v_fma_f64 v[8:9], v[176:177], v[48:49], v[8:9]
	v_fma_f64 v[12:13], v[176:177], v[50:51], -v[12:13]
	;; [unrolled: 2-line block ×3, first 2 shown]
	v_fma_f64 v[10:11], v[172:173], v[54:55], -v[10:11]
	v_fma_f64 v[48:49], v[188:189], v[56:57], v[72:73]
	v_fma_f64 v[50:51], v[188:189], v[58:59], -v[74:75]
	v_fma_f64 v[52:53], v[196:197], v[60:61], v[76:77]
	;; [unrolled: 2-line block ×4, first 2 shown]
	v_fma_f64 v[62:63], v[184:185], v[70:71], -v[86:87]
	ds_read_b128 v[40:43], v233
	ds_read_b128 v[44:47], v233 offset:2800
	v_add_f64 v[72:73], v[0:1], -v[4:5]
	v_add_f64 v[78:79], v[4:5], -v[0:1]
	v_add_f64 v[66:67], v[4:5], v[8:9]
	v_add_f64 v[84:85], v[6:7], v[12:13]
	;; [unrolled: 1-line block ×3, first 2 shown]
	v_add_f64 v[74:75], v[14:15], -v[8:9]
	v_add_f64 v[90:91], v[2:3], v[10:11]
	v_add_f64 v[68:69], v[2:3], -v[10:11]
	v_add_f64 v[70:71], v[6:7], -v[12:13]
	;; [unrolled: 1-line block ×4, first 2 shown]
	v_add_f64 v[96:97], v[52:53], v[56:57]
	v_add_f64 v[104:105], v[54:55], v[58:59]
	s_waitcnt lgkmcnt(1)
	v_add_f64 v[64:65], v[40:41], v[0:1]
	v_add_f64 v[100:101], v[48:49], v[60:61]
	;; [unrolled: 1-line block ×4, first 2 shown]
	v_add_f64 v[0:1], v[0:1], -v[14:15]
	v_add_f64 v[92:93], v[10:11], -v[12:13]
	s_waitcnt lgkmcnt(0)
	v_add_f64 v[98:99], v[44:45], v[48:49]
	v_add_f64 v[118:119], v[46:47], v[50:51]
	v_add_f64 v[86:87], v[4:5], -v[8:9]
	v_add_f64 v[2:3], v[6:7], -v[2:3]
	;; [unrolled: 1-line block ×3, first 2 shown]
	v_fma_f64 v[66:67], v[66:67], -0.5, v[40:41]
	v_fma_f64 v[84:85], v[84:85], -0.5, v[42:43]
	;; [unrolled: 1-line block ×3, first 2 shown]
	v_add_f64 v[102:103], v[50:51], -v[62:63]
	v_fma_f64 v[42:43], v[90:91], -0.5, v[42:43]
	v_add_f64 v[110:111], v[48:49], -v[52:53]
	v_add_f64 v[114:115], v[52:53], -v[48:49]
	;; [unrolled: 1-line block ×4, first 2 shown]
	v_fma_f64 v[96:97], v[96:97], -0.5, v[44:45]
	v_add_f64 v[112:113], v[60:61], -v[56:57]
	v_add_f64 v[4:5], v[64:65], v[4:5]
	v_add_f64 v[64:65], v[72:73], v[74:75]
	v_fma_f64 v[72:73], v[104:105], -0.5, v[46:47]
	v_add_f64 v[76:77], v[52:53], -v[56:57]
	v_fma_f64 v[44:45], v[100:101], -0.5, v[44:45]
	v_fma_f64 v[46:47], v[106:107], -0.5, v[46:47]
	v_add_f64 v[6:7], v[82:83], v[6:7]
	v_add_f64 v[120:121], v[50:51], -v[54:55]
	v_add_f64 v[50:51], v[54:55], -v[50:51]
	;; [unrolled: 1-line block ×3, first 2 shown]
	v_add_f64 v[74:75], v[78:79], v[80:81]
	v_add_f64 v[78:79], v[88:89], v[92:93]
	v_add_f64 v[52:53], v[98:99], v[52:53]
	v_fma_f64 v[82:83], v[68:69], s[4:5], v[66:67]
	v_fma_f64 v[66:67], v[68:69], s[12:13], v[66:67]
	;; [unrolled: 1-line block ×6, first 2 shown]
	v_add_f64 v[54:55], v[118:119], v[54:55]
	v_add_f64 v[2:3], v[2:3], v[94:95]
	v_fma_f64 v[94:95], v[86:87], s[4:5], v[42:43]
	v_fma_f64 v[42:43], v[86:87], s[12:13], v[42:43]
	v_add_f64 v[90:91], v[62:63], -v[58:59]
	v_fma_f64 v[100:101], v[102:103], s[4:5], v[96:97]
	v_fma_f64 v[106:107], v[48:49], s[12:13], v[72:73]
	v_add_f64 v[116:117], v[56:57], -v[60:61]
	v_add_f64 v[80:81], v[110:111], v[112:113]
	v_fma_f64 v[96:97], v[102:103], s[12:13], v[96:97]
	v_fma_f64 v[104:105], v[108:109], s[12:13], v[44:45]
	;; [unrolled: 1-line block ×6, first 2 shown]
	v_add_f64 v[4:5], v[4:5], v[8:9]
	v_add_f64 v[6:7], v[6:7], v[12:13]
	;; [unrolled: 1-line block ×3, first 2 shown]
	v_fma_f64 v[8:9], v[70:71], s[0:1], v[82:83]
	v_fma_f64 v[12:13], v[70:71], s[6:7], v[66:67]
	;; [unrolled: 1-line block ×6, first 2 shown]
	v_add_f64 v[84:85], v[52:53], v[56:57]
	v_add_f64 v[86:87], v[54:55], v[58:59]
	v_fma_f64 v[82:83], v[0:1], s[6:7], v[94:95]
	v_fma_f64 v[0:1], v[0:1], s[0:1], v[42:43]
	v_add_f64 v[90:91], v[120:121], v[90:91]
	v_fma_f64 v[88:89], v[108:109], s[0:1], v[100:101]
	v_fma_f64 v[100:101], v[76:77], s[6:7], v[106:107]
	;; [unrolled: 3-line block ×3, first 2 shown]
	v_fma_f64 v[96:97], v[102:103], s[6:7], v[44:45]
	v_fma_f64 v[102:103], v[48:49], s[6:7], v[110:111]
	;; [unrolled: 1-line block ×4, first 2 shown]
	s_mov_b32 s0, 0x372fe950
	s_mov_b32 s1, 0x3fd3c6ef
	v_add_f64 v[40:41], v[4:5], v[14:15]
	v_add_f64 v[42:43], v[6:7], v[10:11]
	v_fma_f64 v[44:45], v[64:65], s[0:1], v[8:9]
	v_fma_f64 v[52:53], v[74:75], s[0:1], v[50:51]
	;; [unrolled: 1-line block ×4, first 2 shown]
	v_add_f64 v[60:61], v[84:85], v[60:61]
	v_add_f64 v[62:63], v[86:87], v[62:63]
	v_fma_f64 v[54:55], v[2:3], s[0:1], v[82:83]
	v_fma_f64 v[58:59], v[2:3], s[0:1], v[0:1]
	;; [unrolled: 1-line block ×12, first 2 shown]
	ds_write_b128 v233, v[40:43]
	ds_write_b128 v233, v[60:63] offset:2800
	ds_write_b128 v233, v[44:47] offset:5600
	;; [unrolled: 1-line block ×9, first 2 shown]
	s_waitcnt lgkmcnt(0)
	s_barrier
	buffer_gl0_inv
	ds_read_b128 v[40:43], v233
	ds_read_b128 v[44:47], v233 offset:14000
	s_clause 0x1
	buffer_load_dword v0, off, s[36:39], 0
	buffer_load_dword v1, off, s[36:39], 0 offset:4
	ds_read_b128 v[48:51], v233 offset:2800
	ds_read_b128 v[52:55], v233 offset:11200
	s_clause 0x3
	buffer_load_dword v60, off, s[36:39], 0 offset:8
	buffer_load_dword v61, off, s[36:39], 0 offset:12
	;; [unrolled: 1-line block ×4, first 2 shown]
	v_mad_u64_u32 v[2:3], null, s8, v234, 0
	ds_read_b128 v[56:59], v233 offset:16800
	s_mov_b32 s0, 0x835d548e
	s_mov_b32 s1, 0x3f42b97d
	s_mul_i32 s4, s9, 0x36b0
	s_mul_hi_u32 s5, s8, 0x36b0
	s_mul_i32 s6, s8, 0x36b0
	s_add_i32 s5, s5, s4
	s_mul_i32 s7, s9, 0xffffd440
	s_waitcnt lgkmcnt(3)
	v_mul_f64 v[8:9], v[26:27], v[46:47]
	v_mul_f64 v[10:11], v[26:27], v[44:45]
	s_waitcnt lgkmcnt(2)
	v_mul_f64 v[72:73], v[22:23], v[48:49]
	v_fma_f64 v[8:9], v[24:25], v[44:45], v[8:9]
	v_fma_f64 v[10:11], v[24:25], v[46:47], -v[10:11]
	v_mul_f64 v[68:69], v[8:9], s[0:1]
	v_mul_f64 v[70:71], v[10:11], s[0:1]
	s_waitcnt vmcnt(5)
	v_mov_b32_e32 v12, v0
	s_waitcnt vmcnt(0)
	v_mul_f64 v[4:5], v[62:63], v[42:43]
	v_mul_f64 v[6:7], v[62:63], v[40:41]
	v_mad_u64_u32 v[0:1], null, s10, v12, 0
	v_mad_u64_u32 v[12:13], null, s11, v12, v[1:2]
	v_mov_b32_e32 v1, v12
	v_mad_u64_u32 v[13:14], null, s9, v234, v[3:4]
	v_fma_f64 v[4:5], v[60:61], v[40:41], v[4:5]
	v_fma_f64 v[6:7], v[60:61], v[42:43], -v[6:7]
	v_mul_f64 v[14:15], v[22:23], v[50:51]
	s_mul_hi_u32 s9, s8, 0xffffd440
	v_mov_b32_e32 v3, v13
	v_lshlrev_b64 v[12:13], 4, v[0:1]
	v_lshlrev_b64 v[26:27], 4, v[2:3]
	ds_read_b128 v[0:3], v233 offset:5600
	v_add_co_u32 v60, vcc_lo, s2, v12
	v_add_co_ci_u32_e32 v61, vcc_lo, s3, v13, vcc_lo
	ds_read_b128 v[22:25], v233 offset:19600
	ds_read_b128 v[40:43], v233 offset:8400
	ds_read_b128 v[44:47], v233 offset:22400
	v_add_co_u32 v26, vcc_lo, v60, v26
	v_add_co_ci_u32_e32 v27, vcc_lo, v61, v27, vcc_lo
	ds_read_b128 v[60:63], v233 offset:25200
	s_clause 0xb
	buffer_load_dword v84, off, s[36:39], 0 offset:56
	buffer_load_dword v85, off, s[36:39], 0 offset:60
	;; [unrolled: 1-line block ×12, first 2 shown]
	s_waitcnt lgkmcnt(5)
	v_mul_f64 v[12:13], v[18:19], v[58:59]
	v_mul_f64 v[18:19], v[18:19], v[56:57]
	;; [unrolled: 1-line block ×4, first 2 shown]
	v_fma_f64 v[14:15], v[20:21], v[48:49], v[14:15]
	v_fma_f64 v[6:7], v[20:21], v[50:51], -v[72:73]
	v_add_co_u32 v10, vcc_lo, v26, s6
	v_add_co_ci_u32_e32 v11, vcc_lo, s5, v27, vcc_lo
	s_sub_i32 s2, s9, s8
	s_waitcnt lgkmcnt(1)
	v_mul_f64 v[74:75], v[30:31], v[46:47]
	v_mul_f64 v[30:31], v[30:31], v[44:45]
	s_mul_i32 s3, s8, 0xffffd440
	global_store_dwordx4 v[26:27], v[64:67], off
	global_store_dwordx4 v[10:11], v[68:71], off
	v_fma_f64 v[12:13], v[16:17], v[56:57], v[12:13]
	v_mul_f64 v[56:57], v[34:35], v[54:55]
	v_mul_f64 v[34:35], v[34:35], v[52:53]
	v_fma_f64 v[18:19], v[16:17], v[58:59], -v[18:19]
	s_waitcnt lgkmcnt(0)
	v_mul_f64 v[58:59], v[38:39], v[62:63]
	v_mul_f64 v[38:39], v[38:39], v[60:61]
	s_add_i32 s2, s2, s7
	v_add_co_u32 v64, vcc_lo, v10, s3
	v_mul_f64 v[16:17], v[6:7], s[0:1]
	v_add_co_ci_u32_e32 v65, vcc_lo, s2, v11, vcc_lo
	v_mul_f64 v[14:15], v[14:15], s[0:1]
	v_fma_f64 v[26:27], v[32:33], v[52:53], v[56:57]
	global_store_dwordx4 v[64:65], v[14:17], off
	v_mul_f64 v[26:27], v[26:27], s[0:1]
	s_waitcnt vmcnt(8)
	v_mul_f64 v[4:5], v[86:87], v[2:3]
	v_mul_f64 v[8:9], v[86:87], v[0:1]
	s_waitcnt vmcnt(4)
	v_mul_f64 v[20:21], v[82:83], v[24:25]
	;; [unrolled: 3-line block ×3, first 2 shown]
	v_mul_f64 v[72:73], v[78:79], v[40:41]
	v_fma_f64 v[4:5], v[84:85], v[0:1], v[4:5]
	v_fma_f64 v[6:7], v[84:85], v[2:3], -v[8:9]
	v_fma_f64 v[8:9], v[80:81], v[22:23], v[20:21]
	v_fma_f64 v[10:11], v[80:81], v[24:25], -v[48:49]
	v_mul_f64 v[0:1], v[12:13], s[0:1]
	v_fma_f64 v[12:13], v[76:77], v[40:41], v[50:51]
	v_fma_f64 v[20:21], v[76:77], v[42:43], -v[72:73]
	v_fma_f64 v[22:23], v[28:29], v[44:45], v[74:75]
	v_fma_f64 v[24:25], v[28:29], v[46:47], -v[30:31]
	v_fma_f64 v[28:29], v[32:33], v[54:55], -v[34:35]
	v_fma_f64 v[30:31], v[36:37], v[60:61], v[58:59]
	v_fma_f64 v[32:33], v[36:37], v[62:63], -v[38:39]
	v_add_co_u32 v34, vcc_lo, v64, s6
	v_add_co_ci_u32_e32 v35, vcc_lo, s5, v65, vcc_lo
	v_mul_f64 v[2:3], v[18:19], s[0:1]
	v_add_co_u32 v36, vcc_lo, v34, s3
	v_add_co_ci_u32_e32 v37, vcc_lo, s2, v35, vcc_lo
	v_add_co_u32 v38, vcc_lo, v36, s6
	v_mul_f64 v[4:5], v[4:5], s[0:1]
	v_mul_f64 v[6:7], v[6:7], s[0:1]
	;; [unrolled: 1-line block ×4, first 2 shown]
	v_add_co_ci_u32_e32 v39, vcc_lo, s5, v37, vcc_lo
	v_mul_f64 v[18:19], v[12:13], s[0:1]
	v_mul_f64 v[20:21], v[20:21], s[0:1]
	;; [unrolled: 1-line block ×7, first 2 shown]
	v_add_co_u32 v12, vcc_lo, v38, s3
	v_add_co_ci_u32_e32 v13, vcc_lo, s2, v39, vcc_lo
	global_store_dwordx4 v[34:35], v[0:3], off
	v_add_co_u32 v14, vcc_lo, v12, s6
	v_add_co_ci_u32_e32 v15, vcc_lo, s5, v13, vcc_lo
	v_add_co_u32 v0, vcc_lo, v14, s3
	v_add_co_ci_u32_e32 v1, vcc_lo, s2, v15, vcc_lo
	global_store_dwordx4 v[36:37], v[4:7], off
	v_add_co_u32 v2, vcc_lo, v0, s6
	v_add_co_ci_u32_e32 v3, vcc_lo, s5, v1, vcc_lo
	global_store_dwordx4 v[38:39], v[8:11], off
	global_store_dwordx4 v[12:13], v[18:21], off
	;; [unrolled: 1-line block ×5, first 2 shown]
.LBB0_10:
	s_endpgm
	.section	.rodata,"a",@progbits
	.p2align	6, 0x0
	.amdhsa_kernel bluestein_single_back_len1750_dim1_dp_op_CI_CI
		.amdhsa_group_segment_fixed_size 28000
		.amdhsa_private_segment_fixed_size 100
		.amdhsa_kernarg_size 104
		.amdhsa_user_sgpr_count 6
		.amdhsa_user_sgpr_private_segment_buffer 1
		.amdhsa_user_sgpr_dispatch_ptr 0
		.amdhsa_user_sgpr_queue_ptr 0
		.amdhsa_user_sgpr_kernarg_segment_ptr 1
		.amdhsa_user_sgpr_dispatch_id 0
		.amdhsa_user_sgpr_flat_scratch_init 0
		.amdhsa_user_sgpr_private_segment_size 0
		.amdhsa_wavefront_size32 1
		.amdhsa_uses_dynamic_stack 0
		.amdhsa_system_sgpr_private_segment_wavefront_offset 1
		.amdhsa_system_sgpr_workgroup_id_x 1
		.amdhsa_system_sgpr_workgroup_id_y 0
		.amdhsa_system_sgpr_workgroup_id_z 0
		.amdhsa_system_sgpr_workgroup_info 0
		.amdhsa_system_vgpr_workitem_id 0
		.amdhsa_next_free_vgpr 256
		.amdhsa_next_free_sgpr 40
		.amdhsa_reserve_vcc 1
		.amdhsa_reserve_flat_scratch 0
		.amdhsa_float_round_mode_32 0
		.amdhsa_float_round_mode_16_64 0
		.amdhsa_float_denorm_mode_32 3
		.amdhsa_float_denorm_mode_16_64 3
		.amdhsa_dx10_clamp 1
		.amdhsa_ieee_mode 1
		.amdhsa_fp16_overflow 0
		.amdhsa_workgroup_processor_mode 1
		.amdhsa_memory_ordered 1
		.amdhsa_forward_progress 0
		.amdhsa_shared_vgpr_count 0
		.amdhsa_exception_fp_ieee_invalid_op 0
		.amdhsa_exception_fp_denorm_src 0
		.amdhsa_exception_fp_ieee_div_zero 0
		.amdhsa_exception_fp_ieee_overflow 0
		.amdhsa_exception_fp_ieee_underflow 0
		.amdhsa_exception_fp_ieee_inexact 0
		.amdhsa_exception_int_div_zero 0
	.end_amdhsa_kernel
	.text
.Lfunc_end0:
	.size	bluestein_single_back_len1750_dim1_dp_op_CI_CI, .Lfunc_end0-bluestein_single_back_len1750_dim1_dp_op_CI_CI
                                        ; -- End function
	.section	.AMDGPU.csdata,"",@progbits
; Kernel info:
; codeLenInByte = 17748
; NumSgprs: 42
; NumVgprs: 256
; ScratchSize: 100
; MemoryBound: 0
; FloatMode: 240
; IeeeMode: 1
; LDSByteSize: 28000 bytes/workgroup (compile time only)
; SGPRBlocks: 5
; VGPRBlocks: 31
; NumSGPRsForWavesPerEU: 42
; NumVGPRsForWavesPerEU: 256
; Occupancy: 4
; WaveLimiterHint : 1
; COMPUTE_PGM_RSRC2:SCRATCH_EN: 1
; COMPUTE_PGM_RSRC2:USER_SGPR: 6
; COMPUTE_PGM_RSRC2:TRAP_HANDLER: 0
; COMPUTE_PGM_RSRC2:TGID_X_EN: 1
; COMPUTE_PGM_RSRC2:TGID_Y_EN: 0
; COMPUTE_PGM_RSRC2:TGID_Z_EN: 0
; COMPUTE_PGM_RSRC2:TIDIG_COMP_CNT: 0
	.text
	.p2alignl 6, 3214868480
	.fill 48, 4, 3214868480
	.type	__hip_cuid_c729eb646db7721c,@object ; @__hip_cuid_c729eb646db7721c
	.section	.bss,"aw",@nobits
	.globl	__hip_cuid_c729eb646db7721c
__hip_cuid_c729eb646db7721c:
	.byte	0                               ; 0x0
	.size	__hip_cuid_c729eb646db7721c, 1

	.ident	"AMD clang version 19.0.0git (https://github.com/RadeonOpenCompute/llvm-project roc-6.4.0 25133 c7fe45cf4b819c5991fe208aaa96edf142730f1d)"
	.section	".note.GNU-stack","",@progbits
	.addrsig
	.addrsig_sym __hip_cuid_c729eb646db7721c
	.amdgpu_metadata
---
amdhsa.kernels:
  - .args:
      - .actual_access:  read_only
        .address_space:  global
        .offset:         0
        .size:           8
        .value_kind:     global_buffer
      - .actual_access:  read_only
        .address_space:  global
        .offset:         8
        .size:           8
        .value_kind:     global_buffer
      - .actual_access:  read_only
        .address_space:  global
        .offset:         16
        .size:           8
        .value_kind:     global_buffer
      - .actual_access:  read_only
        .address_space:  global
        .offset:         24
        .size:           8
        .value_kind:     global_buffer
      - .actual_access:  read_only
        .address_space:  global
        .offset:         32
        .size:           8
        .value_kind:     global_buffer
      - .offset:         40
        .size:           8
        .value_kind:     by_value
      - .address_space:  global
        .offset:         48
        .size:           8
        .value_kind:     global_buffer
      - .address_space:  global
        .offset:         56
        .size:           8
        .value_kind:     global_buffer
      - .address_space:  global
        .offset:         64
        .size:           8
        .value_kind:     global_buffer
      - .address_space:  global
        .offset:         72
        .size:           8
        .value_kind:     global_buffer
      - .offset:         80
        .size:           4
        .value_kind:     by_value
      - .address_space:  global
        .offset:         88
        .size:           8
        .value_kind:     global_buffer
      - .address_space:  global
        .offset:         96
        .size:           8
        .value_kind:     global_buffer
    .group_segment_fixed_size: 28000
    .kernarg_segment_align: 8
    .kernarg_segment_size: 104
    .language:       OpenCL C
    .language_version:
      - 2
      - 0
    .max_flat_workgroup_size: 175
    .name:           bluestein_single_back_len1750_dim1_dp_op_CI_CI
    .private_segment_fixed_size: 100
    .sgpr_count:     42
    .sgpr_spill_count: 0
    .symbol:         bluestein_single_back_len1750_dim1_dp_op_CI_CI.kd
    .uniform_work_group_size: 1
    .uses_dynamic_stack: false
    .vgpr_count:     256
    .vgpr_spill_count: 24
    .wavefront_size: 32
    .workgroup_processor_mode: 1
amdhsa.target:   amdgcn-amd-amdhsa--gfx1030
amdhsa.version:
  - 1
  - 2
...

	.end_amdgpu_metadata
